;; amdgpu-corpus repo=ROCm/rocFFT kind=compiled arch=gfx1201 opt=O3
	.text
	.amdgcn_target "amdgcn-amd-amdhsa--gfx1201"
	.amdhsa_code_object_version 6
	.protected	bluestein_single_back_len561_dim1_dp_op_CI_CI ; -- Begin function bluestein_single_back_len561_dim1_dp_op_CI_CI
	.globl	bluestein_single_back_len561_dim1_dp_op_CI_CI
	.p2align	8
	.type	bluestein_single_back_len561_dim1_dp_op_CI_CI,@function
bluestein_single_back_len561_dim1_dp_op_CI_CI: ; @bluestein_single_back_len561_dim1_dp_op_CI_CI
; %bb.0:
	s_load_b128 s[8:11], s[0:1], 0x28
	v_mul_u32_u24_e32 v1, 0x506, v0
	s_mov_b32 s2, exec_lo
	s_delay_alu instid0(VALU_DEP_1) | instskip(NEXT) | instid1(VALU_DEP_1)
	v_lshrrev_b32_e32 v1, 16, v1
	v_mad_co_u64_u32 v[3:4], null, ttmp9, 5, v[1:2]
	v_mov_b32_e32 v4, 0
                                        ; kill: def $vgpr2 killed $sgpr0 killed $exec
	s_wait_kmcnt 0x0
	s_delay_alu instid0(VALU_DEP_1)
	v_cmpx_gt_u64_e64 s[8:9], v[3:4]
	s_cbranch_execz .LBB0_23
; %bb.1:
	v_mul_hi_u32 v2, 0xcccccccd, v3
	v_mul_lo_u16 v1, v1, 51
	s_clause 0x1
	s_load_b64 s[8:9], s[0:1], 0x0
	s_load_b64 s[12:13], s[0:1], 0x38
	s_delay_alu instid0(VALU_DEP_1) | instskip(NEXT) | instid1(VALU_DEP_3)
	v_sub_nc_u16 v0, v0, v1
	v_lshrrev_b32_e32 v2, 2, v2
	s_delay_alu instid0(VALU_DEP_2) | instskip(SKIP_1) | instid1(VALU_DEP_3)
	v_and_b32_e32 v255, 0xffff, v0
	v_mov_b32_e32 v1, v3
	v_lshl_add_u32 v2, v2, 2, v2
	v_cmp_gt_u16_e32 vcc_lo, 33, v0
	s_delay_alu instid0(VALU_DEP_4) | instskip(SKIP_4) | instid1(VALU_DEP_1)
	v_lshlrev_b32_e32 v0, 4, v255
	scratch_store_b64 off, v[1:2], off offset:68 ; 8-byte Folded Spill
	v_sub_nc_u32_e32 v1, v3, v2
	scratch_store_b32 off, v0, off offset:76 ; 4-byte Folded Spill
	v_mul_u32_u24_e32 v156, 0x231, v1
	v_lshlrev_b32_e32 v0, 4, v156
	scratch_store_b32 off, v0, off          ; 4-byte Folded Spill
	s_and_saveexec_b32 s3, vcc_lo
	s_cbranch_execz .LBB0_3
; %bb.2:
	scratch_load_b64 v[0:1], off, off offset:68 ; 8-byte Folded Reload
	s_load_b64 s[4:5], s[0:1], 0x18
	v_dual_mov_b32 v173, v156 :: v_dual_lshlrev_b32 v156, 4, v255
	s_wait_kmcnt 0x0
	s_load_b128 s[4:7], s[4:5], 0x0
	s_wait_kmcnt 0x0
	v_mad_co_u64_u32 v[32:33], null, s4, v255, 0
	s_wait_loadcnt 0x0
	s_delay_alu instid0(VALU_DEP_1) | instskip(NEXT) | instid1(VALU_DEP_1)
	v_dual_mov_b32 v1, v33 :: v_dual_mov_b32 v2, v0
	v_mad_co_u64_u32 v[16:17], null, s6, v2, 0
	s_delay_alu instid0(VALU_DEP_1) | instskip(NEXT) | instid1(VALU_DEP_1)
	v_mov_b32_e32 v0, v17
	v_mad_co_u64_u32 v[2:3], null, s7, v2, v[0:1]
	s_delay_alu instid0(VALU_DEP_1)
	v_mov_b32_e32 v17, v2
	v_mad_co_u64_u32 v[18:19], null, s5, v255, v[1:2]
	s_mul_u64 s[4:5], s[4:5], 0x210
	s_clause 0x3
	global_load_b128 v[0:3], v156, s[8:9]
	global_load_b128 v[4:7], v156, s[8:9] offset:528
	global_load_b128 v[8:11], v156, s[8:9] offset:1056
	;; [unrolled: 1-line block ×3, first 2 shown]
	v_lshlrev_b64_e32 v[34:35], 4, v[16:17]
	v_mov_b32_e32 v33, v18
	s_clause 0x3
	global_load_b128 v[16:19], v156, s[8:9] offset:2112
	global_load_b128 v[20:23], v156, s[8:9] offset:2640
	;; [unrolled: 1-line block ×4, first 2 shown]
	v_add_co_u32 v42, s2, s10, v34
	s_delay_alu instid0(VALU_DEP_1)
	v_add_co_ci_u32_e64 v43, s2, s11, v35, s2
	v_lshlrev_b64_e32 v[40:41], 4, v[32:33]
	s_clause 0x1
	global_load_b128 v[32:35], v156, s[8:9] offset:4224
	global_load_b128 v[36:39], v156, s[8:9] offset:4752
	v_add_co_u32 v56, s2, v42, v40
	s_wait_alu 0xf1ff
	v_add_co_ci_u32_e64 v57, s2, v43, v41, s2
	s_clause 0x1
	global_load_b128 v[40:43], v156, s[8:9] offset:5280
	global_load_b128 v[44:47], v156, s[8:9] offset:5808
	s_wait_alu 0xfffe
	v_add_co_u32 v60, s2, v56, s4
	s_wait_alu 0xf1ff
	v_add_co_ci_u32_e64 v61, s2, s5, v57, s2
	s_clause 0x1
	global_load_b128 v[48:51], v156, s[8:9] offset:6336
	global_load_b128 v[52:55], v156, s[8:9] offset:6864
	v_add_co_u32 v64, s2, v60, s4
	s_wait_alu 0xf1ff
	v_add_co_ci_u32_e64 v65, s2, s5, v61, s2
	s_clause 0x1
	global_load_b128 v[56:59], v[56:57], off
	global_load_b128 v[60:63], v[60:61], off
	v_add_co_u32 v68, s2, v64, s4
	s_wait_alu 0xf1ff
	v_add_co_ci_u32_e64 v69, s2, s5, v65, s2
	s_delay_alu instid0(VALU_DEP_2) | instskip(SKIP_1) | instid1(VALU_DEP_2)
	v_add_co_u32 v72, s2, v68, s4
	s_wait_alu 0xf1ff
	v_add_co_ci_u32_e64 v73, s2, s5, v69, s2
	s_clause 0x1
	global_load_b128 v[64:67], v[64:65], off
	global_load_b128 v[68:71], v[68:69], off
	v_add_co_u32 v76, s2, v72, s4
	s_wait_alu 0xf1ff
	v_add_co_ci_u32_e64 v77, s2, s5, v73, s2
	global_load_b128 v[72:75], v[72:73], off
	v_add_co_u32 v80, s2, v76, s4
	s_wait_alu 0xf1ff
	v_add_co_ci_u32_e64 v81, s2, s5, v77, s2
	global_load_b128 v[76:79], v[76:77], off
	v_add_co_u32 v84, s2, v80, s4
	s_wait_alu 0xf1ff
	v_add_co_ci_u32_e64 v85, s2, s5, v81, s2
	global_load_b128 v[80:83], v[80:81], off
	v_add_co_u32 v88, s2, v84, s4
	s_wait_alu 0xf1ff
	v_add_co_ci_u32_e64 v89, s2, s5, v85, s2
	global_load_b128 v[84:87], v[84:85], off
	v_add_co_u32 v92, s2, v88, s4
	s_wait_alu 0xf1ff
	v_add_co_ci_u32_e64 v93, s2, s5, v89, s2
	global_load_b128 v[88:91], v[88:89], off
	v_add_co_u32 v96, s2, v92, s4
	s_wait_alu 0xf1ff
	v_add_co_ci_u32_e64 v97, s2, s5, v93, s2
	global_load_b128 v[92:95], v[92:93], off
	v_add_co_u32 v100, s2, v96, s4
	s_wait_alu 0xf1ff
	v_add_co_ci_u32_e64 v101, s2, s5, v97, s2
	global_load_b128 v[96:99], v[96:97], off
	v_add_co_u32 v104, s2, v100, s4
	s_wait_alu 0xf1ff
	v_add_co_ci_u32_e64 v105, s2, s5, v101, s2
	global_load_b128 v[100:103], v[100:101], off
	v_add_co_u32 v108, s2, v104, s4
	s_wait_alu 0xf1ff
	v_add_co_ci_u32_e64 v109, s2, s5, v105, s2
	global_load_b128 v[104:107], v[104:105], off
	v_add_co_u32 v112, s2, v108, s4
	s_wait_alu 0xf1ff
	v_add_co_ci_u32_e64 v113, s2, s5, v109, s2
	global_load_b128 v[108:111], v[108:109], off
	v_add_co_u32 v124, s2, v112, s4
	s_wait_alu 0xf1ff
	v_add_co_ci_u32_e64 v125, s2, s5, v113, s2
	global_load_b128 v[112:115], v[112:113], off
	v_add_co_u32 v132, s2, v124, s4
	s_wait_alu 0xf1ff
	v_add_co_ci_u32_e64 v133, s2, s5, v125, s2
	s_clause 0x1
	global_load_b128 v[116:119], v156, s[8:9] offset:7392
	global_load_b128 v[120:123], v156, s[8:9] offset:7920
	global_load_b128 v[124:127], v[124:125], off
	global_load_b128 v[128:131], v156, s[8:9] offset:8448
	global_load_b128 v[132:135], v[132:133], off
	s_wait_loadcnt 0x13
	v_mul_f64_e32 v[136:137], v[58:59], v[2:3]
	v_mul_f64_e32 v[2:3], v[56:57], v[2:3]
	s_wait_loadcnt 0x12
	v_mul_f64_e32 v[138:139], v[62:63], v[6:7]
	v_mul_f64_e32 v[6:7], v[60:61], v[6:7]
	;; [unrolled: 3-line block ×14, first 2 shown]
	v_fma_f64 v[54:55], v[56:57], v[0:1], v[136:137]
	v_fma_f64 v[56:57], v[58:59], v[0:1], -v[2:3]
	v_fma_f64 v[0:1], v[60:61], v[4:5], v[138:139]
	v_fma_f64 v[2:3], v[62:63], v[4:5], -v[6:7]
	s_wait_loadcnt 0x4
	v_mul_f64_e32 v[167:168], v[114:115], v[118:119]
	v_mul_f64_e32 v[118:119], v[112:113], v[118:119]
	s_wait_loadcnt 0x2
	v_mul_f64_e32 v[169:170], v[126:127], v[122:123]
	v_mul_f64_e32 v[122:123], v[124:125], v[122:123]
	;; [unrolled: 3-line block ×3, first 2 shown]
	v_fma_f64 v[4:5], v[64:65], v[8:9], v[140:141]
	v_fma_f64 v[6:7], v[66:67], v[8:9], -v[10:11]
	v_fma_f64 v[8:9], v[68:69], v[12:13], v[142:143]
	v_fma_f64 v[10:11], v[70:71], v[12:13], -v[14:15]
	;; [unrolled: 2-line block ×12, first 2 shown]
	v_lshlrev_b32_e32 v53, 4, v173
	v_fma_f64 v[58:59], v[112:113], v[116:117], v[167:168]
	v_fma_f64 v[60:61], v[114:115], v[116:117], -v[118:119]
	v_fma_f64 v[62:63], v[124:125], v[120:121], v[169:170]
	v_fma_f64 v[64:65], v[126:127], v[120:121], -v[122:123]
	;; [unrolled: 2-line block ×3, first 2 shown]
	v_lshl_add_u32 v52, v255, 4, v53
	v_add_nc_u32_e32 v53, v53, v156
	v_mov_b32_e32 v156, v173
	ds_store_b128 v52, v[54:57]
	ds_store_b128 v53, v[0:3] offset:528
	ds_store_b128 v53, v[4:7] offset:1056
	;; [unrolled: 1-line block ×16, first 2 shown]
.LBB0_3:
	s_or_b32 exec_lo, exec_lo, s3
	global_wb scope:SCOPE_SE
	s_wait_storecnt_dscnt 0x0
	s_wait_kmcnt 0x0
	s_barrier_signal -1
	s_barrier_wait -1
	global_inv scope:SCOPE_SE
                                        ; implicit-def: $vgpr20_vgpr21
                                        ; implicit-def: $vgpr40_vgpr41
                                        ; implicit-def: $vgpr44_vgpr45
                                        ; implicit-def: $vgpr48_vgpr49
                                        ; implicit-def: $vgpr60_vgpr61
                                        ; implicit-def: $vgpr64_vgpr65
                                        ; implicit-def: $vgpr68_vgpr69
                                        ; implicit-def: $vgpr76_vgpr77
                                        ; implicit-def: $vgpr84_vgpr85
                                        ; implicit-def: $vgpr88_vgpr89
                                        ; implicit-def: $vgpr92_vgpr93
                                        ; implicit-def: $vgpr96_vgpr97
                                        ; implicit-def: $vgpr80_vgpr81
                                        ; implicit-def: $vgpr36_vgpr37
                                        ; implicit-def: $vgpr32_vgpr33
                                        ; implicit-def: $vgpr28_vgpr29
                                        ; implicit-def: $vgpr24_vgpr25
	s_and_saveexec_b32 s2, vcc_lo
	s_cbranch_execz .LBB0_5
; %bb.4:
	v_lshlrev_b32_e32 v0, 4, v255
	s_delay_alu instid0(VALU_DEP_1)
	v_lshl_add_u32 v0, v156, 4, v0
	ds_load_b128 v[20:23], v0
	ds_load_b128 v[40:43], v0 offset:528
	ds_load_b128 v[44:47], v0 offset:1056
	;; [unrolled: 1-line block ×16, first 2 shown]
.LBB0_5:
	s_wait_alu 0xfffe
	s_or_b32 exec_lo, exec_lo, s2
	s_wait_dscnt 0x0
	v_add_f64_e64 v[52:53], v[42:43], -v[26:27]
	v_add_f64_e64 v[54:55], v[46:47], -v[30:31]
	s_mov_b32 s10, 0x5d8e7cdc
	s_mov_b32 s14, 0x2a9d6da3
	;; [unrolled: 1-line block ×4, first 2 shown]
	v_add_f64_e32 v[122:123], v[40:41], v[24:25]
	v_add_f64_e64 v[104:105], v[44:45], -v[28:29]
	s_mov_b32 s2, 0x370991
	s_mov_b32 s3, 0x3fedd6d0
	v_add_f64_e32 v[102:103], v[44:45], v[28:29]
	s_mov_b32 s4, 0x75d4884
	s_mov_b32 s5, 0x3fe7a5f6
	v_add_f64_e64 v[100:101], v[40:41], -v[24:25]
	v_add_f64_e32 v[159:160], v[42:43], v[26:27]
	v_add_f64_e32 v[106:107], v[46:47], v[30:31]
	v_add_f64_e64 v[108:109], v[50:51], -v[34:35]
	s_mov_b32 s28, 0x7c9e640b
	s_mov_b32 s29, 0xbfeca52d
	v_add_f64_e32 v[110:111], v[48:49], v[32:33]
	s_mov_b32 s6, 0x2b2883cd
	s_mov_b32 s7, 0x3fdc86fa
	v_add_f64_e64 v[112:113], v[48:49], -v[32:33]
	v_add_f64_e32 v[118:119], v[50:51], v[34:35]
	v_add_f64_e64 v[237:238], v[62:63], -v[38:39]
	s_mov_b32 s26, 0xeb564b22
	s_mov_b32 s27, 0xbfefdd0d
	v_add_f64_e32 v[114:115], v[60:61], v[36:37]
	s_mov_b32 s16, 0x3259b75e
	s_mov_b32 s17, 0x3fb79ee6
	v_add_f64_e64 v[243:244], v[60:61], -v[36:37]
	v_add_f64_e32 v[130:131], v[62:63], v[38:39]
	v_add_f64_e64 v[245:246], v[66:67], -v[82:83]
	s_mov_b32 s30, 0x923c349f
	s_mov_b32 s31, 0xbfeec746
	v_add_f64_e32 v[126:127], v[64:65], v[80:81]
	s_mov_b32 s18, 0xc61f0d01
	s_mov_b32 s19, 0xbfd183b1
	s_wait_alu 0xfffe
	v_mul_f64_e32 v[0:1], s[10:11], v[52:53]
	v_mul_f64_e32 v[2:3], s[14:15], v[54:55]
	v_add_f64_e64 v[249:250], v[64:65], -v[80:81]
	v_add_f64_e32 v[138:139], v[66:67], v[82:83]
	v_add_f64_e64 v[253:254], v[70:71], -v[98:99]
	s_mov_b32 s34, 0x6c9a05f6
	s_mov_b32 s35, 0xbfe9895b
	v_mul_f64_e32 v[4:5], s[14:15], v[104:105]
	v_add_f64_e32 v[134:135], v[68:69], v[96:97]
	s_mov_b32 s20, 0x6ed5f1bb
	s_mov_b32 s21, 0xbfe348c8
	v_add_f64_e64 v[124:125], v[68:69], -v[96:97]
	v_add_f64_e32 v[146:147], v[70:71], v[98:99]
	v_add_f64_e64 v[128:129], v[78:79], -v[94:95]
	s_mov_b32 s36, 0x4363dd80
	s_mov_b32 s37, 0xbfe0d888
	v_add_f64_e32 v[142:143], v[76:77], v[92:93]
	s_mov_b32 s22, 0x910ea3b9
	s_mov_b32 s23, 0xbfeb34fa
	v_add_f64_e64 v[132:133], v[76:77], -v[92:93]
	v_add_f64_e32 v[154:155], v[78:79], v[94:95]
	v_add_f64_e64 v[136:137], v[86:87], -v[90:91]
	s_mov_b32 s38, 0xacd6c6b4
	s_mov_b32 s39, 0xbfc7851a
	v_add_f64_e32 v[150:151], v[84:85], v[88:89]
	s_mov_b32 s24, 0x7faef3
	s_mov_b32 s25, 0xbfef7484
	v_add_f64_e64 v[140:141], v[84:85], -v[88:89]
	v_add_f64_e32 v[163:164], v[86:87], v[90:91]
	v_mul_f64_e32 v[173:174], s[14:15], v[100:101]
	s_mov_b32 s43, 0x3fd71e95
	s_mov_b32 s42, s10
	;; [unrolled: 1-line block ×8, first 2 shown]
	v_mul_f64_e32 v[215:216], s[28:29], v[52:53]
	s_clause 0x1
	scratch_store_b64 off, v[2:3], off offset:80
	scratch_store_b64 off, v[0:1], off offset:124
	v_fma_f64 v[0:1], v[122:123], s[2:3], v[0:1]
	v_fma_f64 v[2:3], v[102:103], s[4:5], v[2:3]
	v_mul_f64_e32 v[217:218], s[28:29], v[100:101]
	s_mov_b32 s45, 0x3fc7851a
	scratch_store_b64 off, v[4:5], off offset:88 ; 8-byte Folded Spill
	v_fma_f64 v[4:5], v[106:107], s[4:5], -v[4:5]
	s_mov_b32 s44, s38
	v_mul_f64_e32 v[219:220], s[26:27], v[52:53]
	v_mul_f64_e32 v[221:222], s[26:27], v[100:101]
	;; [unrolled: 1-line block ×4, first 2 shown]
	s_mov_b32 s51, 0x3fe9895b
	s_mov_b32 s50, s34
	v_mul_f64_e32 v[223:224], s[30:31], v[52:53]
	v_mul_f64_e32 v[225:226], s[30:31], v[100:101]
	;; [unrolled: 1-line block ×25, first 2 shown]
	v_add_f64_e32 v[0:1], v[20:21], v[0:1]
	v_mul_f64_e32 v[177:178], s[30:31], v[136:137]
	v_mul_f64_e32 v[197:198], s[30:31], v[140:141]
	;; [unrolled: 1-line block ×8, first 2 shown]
	v_fma_f64 v[116:117], v[106:107], s[6:7], -v[157:158]
	v_add_f64_e32 v[0:1], v[2:3], v[0:1]
	v_mul_f64_e32 v[2:3], s[10:11], v[100:101]
	v_fma_f64 v[100:101], v[106:107], s[2:3], -v[239:240]
	scratch_store_b64 off, v[2:3], off offset:212 ; 8-byte Folded Spill
	v_fma_f64 v[2:3], v[159:160], s[2:3], -v[2:3]
	s_delay_alu instid0(VALU_DEP_1) | instskip(NEXT) | instid1(VALU_DEP_1)
	v_add_f64_e32 v[2:3], v[22:23], v[2:3]
	v_add_f64_e32 v[2:3], v[4:5], v[2:3]
	v_mul_f64_e32 v[4:5], s[28:29], v[108:109]
	scratch_store_b64 off, v[4:5], off offset:96 ; 8-byte Folded Spill
	v_fma_f64 v[4:5], v[110:111], s[6:7], v[4:5]
	s_delay_alu instid0(VALU_DEP_1) | instskip(SKIP_3) | instid1(VALU_DEP_1)
	v_add_f64_e32 v[0:1], v[4:5], v[0:1]
	v_mul_f64_e32 v[4:5], s[28:29], v[112:113]
	scratch_store_b64 off, v[4:5], off offset:112 ; 8-byte Folded Spill
	v_fma_f64 v[4:5], v[118:119], s[6:7], -v[4:5]
	v_add_f64_e32 v[2:3], v[4:5], v[2:3]
	v_mul_f64_e32 v[4:5], s[26:27], v[237:238]
	scratch_store_b64 off, v[4:5], off offset:104 ; 8-byte Folded Spill
	v_fma_f64 v[4:5], v[114:115], s[16:17], v[4:5]
	s_delay_alu instid0(VALU_DEP_1) | instskip(SKIP_3) | instid1(VALU_DEP_1)
	v_add_f64_e32 v[0:1], v[4:5], v[0:1]
	v_mul_f64_e32 v[4:5], s[26:27], v[243:244]
	scratch_store_b64 off, v[4:5], off offset:156 ; 8-byte Folded Spill
	v_fma_f64 v[4:5], v[130:131], s[16:17], -v[4:5]
	;; [unrolled: 9-line block ×6, first 2 shown]
	v_add_f64_e32 v[2:3], v[4:5], v[2:3]
	scratch_store_b128 off, v[0:3], off offset:4 ; 16-byte Folded Spill
	v_mul_f64_e32 v[0:1], s[14:15], v[52:53]
	v_mul_f64_e32 v[2:3], s[42:43], v[140:141]
	scratch_store_b64 off, v[0:1], off offset:596 ; 8-byte Folded Spill
	v_fma_f64 v[4:5], v[122:123], s[4:5], v[0:1]
	v_mul_f64_e32 v[0:1], s[26:27], v[54:55]
	scratch_store_b64 off, v[2:3], off offset:340 ; 8-byte Folded Spill
	v_add_f64_e32 v[4:5], v[20:21], v[4:5]
	v_fma_f64 v[6:7], v[102:103], s[16:17], v[0:1]
	scratch_store_b64 off, v[0:1], off offset:228 ; 8-byte Folded Spill
	v_mul_f64_e32 v[0:1], s[26:27], v[104:105]
	v_add_f64_e32 v[4:5], v[6:7], v[4:5]
	v_fma_f64 v[6:7], v[159:160], s[4:5], -v[173:174]
	scratch_store_b64 off, v[0:1], off offset:244 ; 8-byte Folded Spill
	v_fma_f64 v[8:9], v[106:107], s[16:17], -v[0:1]
	v_mul_f64_e32 v[0:1], s[34:35], v[108:109]
	v_add_f64_e32 v[6:7], v[22:23], v[6:7]
	scratch_store_b64 off, v[0:1], off offset:236 ; 8-byte Folded Spill
	v_add_f64_e32 v[6:7], v[8:9], v[6:7]
	v_fma_f64 v[8:9], v[110:111], s[20:21], v[0:1]
	v_mul_f64_e32 v[0:1], s[34:35], v[112:113]
	s_delay_alu instid0(VALU_DEP_2) | instskip(SKIP_3) | instid1(VALU_DEP_2)
	v_add_f64_e32 v[4:5], v[8:9], v[4:5]
	scratch_store_b64 off, v[0:1], off offset:260 ; 8-byte Folded Spill
	v_fma_f64 v[8:9], v[118:119], s[20:21], -v[0:1]
	v_mul_f64_e32 v[0:1], s[38:39], v[237:238]
	v_add_f64_e32 v[6:7], v[8:9], v[6:7]
	scratch_store_b64 off, v[0:1], off offset:252 ; 8-byte Folded Spill
	v_fma_f64 v[8:9], v[114:115], s[24:25], v[0:1]
	v_mul_f64_e32 v[0:1], s[38:39], v[243:244]
	s_delay_alu instid0(VALU_DEP_2) | instskip(SKIP_3) | instid1(VALU_DEP_2)
	v_add_f64_e32 v[4:5], v[8:9], v[4:5]
	scratch_store_b64 off, v[0:1], off offset:292 ; 8-byte Folded Spill
	v_fma_f64 v[8:9], v[130:131], s[24:25], -v[0:1]
	v_mul_f64_e32 v[0:1], s[48:49], v[245:246]
	v_add_f64_e32 v[6:7], v[8:9], v[6:7]
	scratch_store_b64 off, v[0:1], off offset:284 ; 8-byte Folded Spill
	;; [unrolled: 9-line block ×4, first 2 shown]
	v_fma_f64 v[8:9], v[142:143], s[6:7], v[0:1]
	v_mul_f64_e32 v[0:1], s[40:41], v[132:133]
	s_delay_alu instid0(VALU_DEP_2) | instskip(SKIP_3) | instid1(VALU_DEP_2)
	v_add_f64_e32 v[4:5], v[8:9], v[4:5]
	scratch_store_b64 off, v[0:1], off offset:324 ; 8-byte Folded Spill
	v_fma_f64 v[8:9], v[154:155], s[6:7], -v[0:1]
	v_mul_f64_e32 v[0:1], s[42:43], v[136:137]
	v_add_f64_e32 v[6:7], v[8:9], v[6:7]
	s_delay_alu instid0(VALU_DEP_2) | instskip(SKIP_4) | instid1(VALU_DEP_2)
	v_fma_f64 v[8:9], v[150:151], s[2:3], v[0:1]
	scratch_store_b64 off, v[0:1], off offset:300 ; 8-byte Folded Spill
	v_add_f64_e32 v[0:1], v[8:9], v[4:5]
	v_fma_f64 v[8:9], v[163:164], s[2:3], -v[2:3]
	v_mul_f64_e32 v[4:5], s[34:35], v[54:55]
	v_add_f64_e32 v[2:3], v[8:9], v[6:7]
	v_fma_f64 v[8:9], v[122:123], s[6:7], v[215:216]
	s_delay_alu instid0(VALU_DEP_3)
	v_fma_f64 v[10:11], v[102:103], s[20:21], v[4:5]
	v_mul_f64_e32 v[6:7], s[44:45], v[108:109]
	scratch_store_b128 off, v[0:3], off offset:20 ; 16-byte Folded Spill
	v_add_f64_e32 v[8:9], v[20:21], v[8:9]
	v_mul_f64_e32 v[0:1], s[34:35], v[104:105]
	v_mul_f64_e32 v[2:3], s[36:37], v[140:141]
	s_delay_alu instid0(VALU_DEP_3) | instskip(SKIP_1) | instid1(VALU_DEP_4)
	v_add_f64_e32 v[8:9], v[10:11], v[8:9]
	v_fma_f64 v[10:11], v[159:160], s[6:7], -v[217:218]
	v_fma_f64 v[12:13], v[106:107], s[20:21], -v[0:1]
	scratch_store_b64 off, v[0:1], off offset:332 ; 8-byte Folded Spill
	v_mul_f64_e32 v[0:1], s[44:45], v[112:113]
	s_mov_b32 s45, 0x3fe58eea
	s_mov_b32 s44, s14
	scratch_store_b64 off, v[2:3], off offset:420 ; 8-byte Folded Spill
	s_wait_alu 0xfffe
	v_mul_f64_e32 v[185:186], s[44:45], v[128:129]
	v_mul_f64_e32 v[199:200], s[44:45], v[132:133]
	v_add_f64_e32 v[10:11], v[22:23], v[10:11]
	scratch_store_b64 off, v[0:1], off offset:364 ; 8-byte Folded Spill
	v_add_f64_e32 v[10:11], v[12:13], v[10:11]
	v_fma_f64 v[12:13], v[110:111], s[24:25], v[6:7]
	s_delay_alu instid0(VALU_DEP_1) | instskip(SKIP_2) | instid1(VALU_DEP_2)
	v_add_f64_e32 v[8:9], v[12:13], v[8:9]
	v_fma_f64 v[12:13], v[118:119], s[24:25], -v[0:1]
	v_mul_f64_e32 v[0:1], s[46:47], v[237:238]
	v_add_f64_e32 v[10:11], v[12:13], v[10:11]
	scratch_store_b64 off, v[0:1], off offset:308 ; 8-byte Folded Spill
	v_fma_f64 v[12:13], v[114:115], s[18:19], v[0:1]
	v_mul_f64_e32 v[0:1], s[46:47], v[243:244]
	s_delay_alu instid0(VALU_DEP_2) | instskip(SKIP_3) | instid1(VALU_DEP_2)
	v_add_f64_e32 v[8:9], v[12:13], v[8:9]
	scratch_store_b64 off, v[0:1], off offset:404 ; 8-byte Folded Spill
	v_fma_f64 v[12:13], v[130:131], s[18:19], -v[0:1]
	v_mul_f64_e32 v[0:1], s[44:45], v[245:246]
	v_add_f64_e32 v[10:11], v[12:13], v[10:11]
	scratch_store_b64 off, v[0:1], off offset:396 ; 8-byte Folded Spill
	v_fma_f64 v[12:13], v[126:127], s[4:5], v[0:1]
	v_mul_f64_e32 v[0:1], s[44:45], v[249:250]
	s_delay_alu instid0(VALU_DEP_2) | instskip(SKIP_3) | instid1(VALU_DEP_2)
	v_add_f64_e32 v[8:9], v[12:13], v[8:9]
	scratch_store_b64 off, v[0:1], off offset:500 ; 8-byte Folded Spill
	;; [unrolled: 9-line block ×4, first 2 shown]
	v_fma_f64 v[12:13], v[154:155], s[16:17], -v[0:1]
	v_mul_f64_e32 v[0:1], s[36:37], v[136:137]
	v_add_f64_e32 v[10:11], v[12:13], v[10:11]
	s_delay_alu instid0(VALU_DEP_2) | instskip(SKIP_4) | instid1(VALU_DEP_2)
	v_fma_f64 v[12:13], v[150:151], s[22:23], v[0:1]
	scratch_store_b64 off, v[0:1], off offset:356 ; 8-byte Folded Spill
	v_add_f64_e32 v[0:1], v[12:13], v[8:9]
	v_fma_f64 v[12:13], v[163:164], s[22:23], -v[2:3]
	v_mul_f64_e32 v[8:9], s[38:39], v[54:55]
	v_add_f64_e32 v[2:3], v[12:13], v[10:11]
	v_fma_f64 v[12:13], v[122:123], s[16:17], v[219:220]
	s_delay_alu instid0(VALU_DEP_3)
	v_fma_f64 v[14:15], v[102:103], s[24:25], v[8:9]
	v_mul_f64_e32 v[10:11], s[46:47], v[108:109]
	scratch_store_b128 off, v[0:3], off offset:36 ; 16-byte Folded Spill
	v_add_f64_e32 v[12:13], v[20:21], v[12:13]
	v_mul_f64_e32 v[0:1], s[38:39], v[104:105]
	v_mul_f64_e32 v[2:3], s[44:45], v[140:141]
	s_delay_alu instid0(VALU_DEP_3) | instskip(SKIP_1) | instid1(VALU_DEP_4)
	v_add_f64_e32 v[12:13], v[14:15], v[12:13]
	v_fma_f64 v[14:15], v[159:160], s[16:17], -v[221:222]
	v_fma_f64 v[16:17], v[106:107], s[24:25], -v[0:1]
	scratch_store_b64 off, v[0:1], off offset:388 ; 8-byte Folded Spill
	v_mul_f64_e32 v[0:1], s[46:47], v[112:113]
	scratch_store_b64 off, v[2:3], off offset:516 ; 8-byte Folded Spill
	v_add_f64_e32 v[14:15], v[22:23], v[14:15]
	scratch_store_b64 off, v[0:1], off offset:444 ; 8-byte Folded Spill
	v_add_f64_e32 v[14:15], v[16:17], v[14:15]
	v_fma_f64 v[16:17], v[110:111], s[18:19], v[10:11]
	s_delay_alu instid0(VALU_DEP_1) | instskip(SKIP_2) | instid1(VALU_DEP_2)
	v_add_f64_e32 v[12:13], v[16:17], v[12:13]
	v_fma_f64 v[16:17], v[118:119], s[18:19], -v[0:1]
	v_mul_f64_e32 v[0:1], s[42:43], v[237:238]
	v_add_f64_e32 v[14:15], v[16:17], v[14:15]
	scratch_store_b64 off, v[0:1], off offset:372 ; 8-byte Folded Spill
	v_fma_f64 v[16:17], v[114:115], s[2:3], v[0:1]
	v_mul_f64_e32 v[0:1], s[42:43], v[243:244]
	s_delay_alu instid0(VALU_DEP_2) | instskip(SKIP_3) | instid1(VALU_DEP_2)
	v_add_f64_e32 v[12:13], v[16:17], v[12:13]
	scratch_store_b64 off, v[0:1], off offset:524 ; 8-byte Folded Spill
	v_fma_f64 v[16:17], v[130:131], s[2:3], -v[0:1]
	v_mul_f64_e32 v[0:1], s[28:29], v[245:246]
	v_add_f64_e32 v[14:15], v[16:17], v[14:15]
	s_delay_alu instid0(VALU_DEP_2)
	v_fma_f64 v[16:17], v[126:127], s[6:7], v[0:1]
	scratch_store_b64 off, v[0:1], off offset:476 ; 8-byte Folded Spill
	v_mul_f64_e32 v[0:1], s[36:37], v[253:254]
	v_add_f64_e32 v[12:13], v[16:17], v[12:13]
	v_fma_f64 v[16:17], v[138:139], s[6:7], -v[148:149]
	scratch_store_b64 off, v[0:1], off offset:572 ; 8-byte Folded Spill
	v_add_f64_e32 v[14:15], v[16:17], v[14:15]
	v_fma_f64 v[16:17], v[134:135], s[22:23], v[0:1]
	v_mul_f64_e32 v[0:1], s[50:51], v[128:129]
	s_delay_alu instid0(VALU_DEP_2)
	v_add_f64_e32 v[12:13], v[16:17], v[12:13]
	v_fma_f64 v[16:17], v[146:147], s[22:23], -v[181:182]
	scratch_store_b64 off, v[0:1], off offset:468 ; 8-byte Folded Spill
	v_add_f64_e32 v[14:15], v[16:17], v[14:15]
	v_fma_f64 v[16:17], v[142:143], s[20:21], v[0:1]
	v_mul_f64_e32 v[0:1], s[50:51], v[132:133]
	s_delay_alu instid0(VALU_DEP_2) | instskip(SKIP_3) | instid1(VALU_DEP_2)
	v_add_f64_e32 v[12:13], v[16:17], v[12:13]
	scratch_store_b64 off, v[0:1], off offset:532 ; 8-byte Folded Spill
	v_fma_f64 v[16:17], v[154:155], s[20:21], -v[0:1]
	v_mul_f64_e32 v[0:1], s[44:45], v[136:137]
	v_add_f64_e32 v[14:15], v[16:17], v[14:15]
	s_delay_alu instid0(VALU_DEP_2) | instskip(SKIP_4) | instid1(VALU_DEP_2)
	v_fma_f64 v[16:17], v[150:151], s[4:5], v[0:1]
	scratch_store_b64 off, v[0:1], off offset:436 ; 8-byte Folded Spill
	v_add_f64_e32 v[0:1], v[16:17], v[12:13]
	v_fma_f64 v[16:17], v[163:164], s[4:5], -v[2:3]
	v_mul_f64_e32 v[12:13], s[44:45], v[108:109]
	v_add_f64_e32 v[2:3], v[16:17], v[14:15]
	v_fma_f64 v[16:17], v[122:123], s[18:19], v[223:224]
	v_mul_f64_e32 v[14:15], s[46:47], v[54:55]
	scratch_store_b128 off, v[0:3], off offset:52 ; 16-byte Folded Spill
	v_mul_f64_e32 v[2:3], s[48:49], v[54:55]
	v_add_f64_e32 v[16:17], v[20:21], v[16:17]
	v_mul_f64_e32 v[0:1], s[48:49], v[104:105]
	v_fma_f64 v[58:59], v[102:103], s[18:19], v[14:15]
	s_delay_alu instid0(VALU_DEP_4) | instskip(NEXT) | instid1(VALU_DEP_3)
	v_fma_f64 v[18:19], v[102:103], s[22:23], v[2:3]
	v_fma_f64 v[56:57], v[106:107], s[22:23], -v[0:1]
	scratch_store_b64 off, v[0:1], off offset:452 ; 8-byte Folded Spill
	v_mul_f64_e32 v[0:1], s[44:45], v[112:113]
	v_mul_f64_e32 v[112:113], s[40:41], v[124:125]
	v_add_f64_e32 v[16:17], v[18:19], v[16:17]
	v_fma_f64 v[18:19], v[159:160], s[18:19], -v[225:226]
	scratch_store_b64 off, v[0:1], off offset:548 ; 8-byte Folded Spill
	v_add_f64_e32 v[18:19], v[22:23], v[18:19]
	s_delay_alu instid0(VALU_DEP_1) | instskip(SKIP_1) | instid1(VALU_DEP_1)
	v_add_f64_e32 v[18:19], v[56:57], v[18:19]
	v_fma_f64 v[56:57], v[110:111], s[4:5], v[12:13]
	v_add_f64_e32 v[16:17], v[56:57], v[16:17]
	v_fma_f64 v[56:57], v[118:119], s[4:5], -v[0:1]
	v_mul_f64_e32 v[0:1], s[28:29], v[237:238]
	s_mov_b32 s29, 0x3fefdd0d
	s_mov_b32 s28, s26
	s_wait_alu 0xfffe
	v_mul_f64_e32 v[175:176], s[28:29], v[253:254]
	v_mul_f64_e32 v[205:206], s[28:29], v[124:125]
	;; [unrolled: 1-line block ×5, first 2 shown]
	v_add_f64_e32 v[18:19], v[56:57], v[18:19]
	v_fma_f64 v[56:57], v[114:115], s[6:7], v[0:1]
	scratch_store_b64 off, v[0:1], off offset:428 ; 8-byte Folded Spill
	v_mul_f64_e32 v[0:1], s[38:39], v[245:246]
	v_mul_f64_e32 v[245:246], s[30:31], v[128:129]
	v_add_f64_e32 v[16:17], v[56:57], v[16:17]
	v_fma_f64 v[56:57], v[130:131], s[6:7], -v[161:162]
	scratch_store_b64 off, v[0:1], off offset:588 ; 8-byte Folded Spill
	v_add_f64_e32 v[18:19], v[56:57], v[18:19]
	v_fma_f64 v[56:57], v[126:127], s[24:25], v[0:1]
	v_mul_f64_e32 v[0:1], s[10:11], v[128:129]
	s_delay_alu instid0(VALU_DEP_2) | instskip(SKIP_4) | instid1(VALU_DEP_1)
	v_add_f64_e32 v[16:17], v[56:57], v[16:17]
	v_fma_f64 v[56:57], v[138:139], s[24:25], -v[189:190]
	scratch_store_b64 off, v[0:1], off offset:564 ; 8-byte Folded Spill
	v_add_f64_e32 v[18:19], v[56:57], v[18:19]
	v_fma_f64 v[56:57], v[134:135], s[16:17], v[175:176]
	v_add_f64_e32 v[16:17], v[56:57], v[16:17]
	v_fma_f64 v[56:57], v[146:147], s[16:17], -v[205:206]
	s_delay_alu instid0(VALU_DEP_1) | instskip(SKIP_2) | instid1(VALU_DEP_2)
	v_add_f64_e32 v[18:19], v[56:57], v[18:19]
	v_fma_f64 v[56:57], v[142:143], s[2:3], v[0:1]
	v_mul_f64_e32 v[0:1], s[34:35], v[136:137]
	v_add_f64_e32 v[16:17], v[56:57], v[16:17]
	v_fma_f64 v[56:57], v[154:155], s[2:3], -v[165:166]
	scratch_store_b64 off, v[0:1], off offset:540 ; 8-byte Folded Spill
	v_add_f64_e32 v[18:19], v[56:57], v[18:19]
	v_fma_f64 v[56:57], v[150:151], s[20:21], v[0:1]
	v_mul_f64_e32 v[0:1], s[46:47], v[104:105]
	v_mul_f64_e32 v[104:105], s[44:45], v[243:244]
	;; [unrolled: 1-line block ×3, first 2 shown]
	s_delay_alu instid0(VALU_DEP_4)
	v_add_f64_e32 v[16:17], v[56:57], v[16:17]
	v_fma_f64 v[56:57], v[163:164], s[20:21], -v[152:153]
	scratch_store_b64 off, v[0:1], off offset:556 ; 8-byte Folded Spill
	v_fma_f64 v[72:73], v[106:107], s[18:19], -v[0:1]
	v_mul_f64_e32 v[0:1], s[10:11], v[108:109]
	v_add_f64_e32 v[18:19], v[56:57], v[18:19]
	v_fma_f64 v[56:57], v[122:123], s[20:21], v[227:228]
	scratch_store_b64 off, v[0:1], off offset:492 ; 8-byte Folded Spill
	v_add_f64_e32 v[56:57], v[20:21], v[56:57]
	s_delay_alu instid0(VALU_DEP_1) | instskip(SKIP_1) | instid1(VALU_DEP_1)
	v_add_f64_e32 v[56:57], v[58:59], v[56:57]
	v_fma_f64 v[58:59], v[159:160], s[20:21], -v[229:230]
	v_add_f64_e32 v[58:59], v[22:23], v[58:59]
	s_delay_alu instid0(VALU_DEP_1) | instskip(SKIP_2) | instid1(VALU_DEP_2)
	v_add_f64_e32 v[58:59], v[72:73], v[58:59]
	v_fma_f64 v[72:73], v[110:111], s[2:3], v[0:1]
	v_mul_f64_e32 v[0:1], s[36:37], v[237:238]
	v_add_f64_e32 v[56:57], v[72:73], v[56:57]
	v_fma_f64 v[72:73], v[118:119], s[2:3], -v[169:170]
	scratch_store_b64 off, v[0:1], off offset:508 ; 8-byte Folded Spill
	v_add_f64_e32 v[58:59], v[72:73], v[58:59]
	v_fma_f64 v[72:73], v[114:115], s[22:23], v[0:1]
	v_mul_f64_e32 v[0:1], s[40:41], v[54:55]
	v_fma_f64 v[54:55], v[102:103], s[2:3], v[231:232]
	s_delay_alu instid0(VALU_DEP_3) | instskip(SKIP_1) | instid1(VALU_DEP_4)
	v_add_f64_e32 v[56:57], v[72:73], v[56:57]
	v_fma_f64 v[72:73], v[130:131], s[22:23], -v[191:192]
	v_fma_f64 v[74:75], v[102:103], s[6:7], v[0:1]
	scratch_store_b64 off, v[0:1], off offset:484 ; 8-byte Folded Spill
	v_mul_f64_e32 v[0:1], s[26:27], v[108:109]
	v_mul_f64_e32 v[108:109], s[34:35], v[249:250]
	;; [unrolled: 1-line block ×3, first 2 shown]
	v_add_f64_e32 v[58:59], v[72:73], v[58:59]
	v_fma_f64 v[72:73], v[126:127], s[16:17], v[171:172]
	scratch_store_b64 off, v[0:1], off offset:580 ; 8-byte Folded Spill
	v_add_f64_e32 v[56:57], v[72:73], v[56:57]
	v_fma_f64 v[72:73], v[138:139], s[16:17], -v[203:204]
	s_delay_alu instid0(VALU_DEP_1) | instskip(SKIP_1) | instid1(VALU_DEP_1)
	v_add_f64_e32 v[58:59], v[72:73], v[58:59]
	v_fma_f64 v[72:73], v[134:135], s[4:5], v[195:196]
	v_add_f64_e32 v[56:57], v[72:73], v[56:57]
	v_fma_f64 v[72:73], v[146:147], s[4:5], -v[211:212]
	s_delay_alu instid0(VALU_DEP_1) | instskip(SKIP_1) | instid1(VALU_DEP_1)
	v_add_f64_e32 v[58:59], v[72:73], v[58:59]
	v_fma_f64 v[72:73], v[142:143], s[24:25], v[167:168]
	;; [unrolled: 5-line block ×4, first 2 shown]
	v_add_f64_e32 v[72:73], v[20:21], v[72:73]
	s_delay_alu instid0(VALU_DEP_1) | instskip(SKIP_1) | instid1(VALU_DEP_1)
	v_add_f64_e32 v[72:73], v[74:75], v[72:73]
	v_fma_f64 v[74:75], v[159:160], s[22:23], -v[241:242]
	v_add_f64_e32 v[74:75], v[22:23], v[74:75]
	s_delay_alu instid0(VALU_DEP_1) | instskip(SKIP_3) | instid1(VALU_DEP_3)
	v_add_f64_e32 v[74:75], v[116:117], v[74:75]
	v_fma_f64 v[116:117], v[110:111], s[16:17], v[0:1]
	v_mul_f64_e32 v[0:1], s[50:51], v[237:238]
	v_mul_f64_e32 v[237:238], s[44:45], v[237:238]
	v_add_f64_e32 v[72:73], v[116:117], v[72:73]
	v_fma_f64 v[116:117], v[118:119], s[16:17], -v[187:188]
	scratch_store_b64 off, v[0:1], off offset:604 ; 8-byte Folded Spill
	s_clause 0x1
	s_load_b64 s[14:15], s[0:1], 0x20
	s_load_b64 s[10:11], s[0:1], 0x8
	global_wb scope:SCOPE_SE
	s_wait_storecnt 0x0
	s_wait_kmcnt 0x0
	s_barrier_signal -1
	s_barrier_wait -1
	global_inv scope:SCOPE_SE
	v_add_f64_e32 v[74:75], v[116:117], v[74:75]
	v_fma_f64 v[116:117], v[114:115], s[20:21], v[0:1]
	v_mul_lo_u16 v0, v255, 17
	scratch_store_b32 off, v0, off offset:120 ; 4-byte Folded Spill
	v_add_f64_e32 v[72:73], v[116:117], v[72:73]
	v_fma_f64 v[116:117], v[130:131], s[20:21], -v[201:202]
	s_delay_alu instid0(VALU_DEP_1) | instskip(SKIP_1) | instid1(VALU_DEP_1)
	v_add_f64_e32 v[74:75], v[116:117], v[74:75]
	v_fma_f64 v[116:117], v[126:127], s[2:3], v[193:194]
	v_add_f64_e32 v[72:73], v[116:117], v[72:73]
	v_fma_f64 v[116:117], v[138:139], s[2:3], -v[209:210]
	s_delay_alu instid0(VALU_DEP_1) | instskip(SKIP_1) | instid1(VALU_DEP_1)
	v_add_f64_e32 v[74:75], v[116:117], v[74:75]
	v_fma_f64 v[116:117], v[134:135], s[24:25], v[207:208]
	;; [unrolled: 5-line block ×4, first 2 shown]
	v_add_f64_e32 v[72:73], v[116:117], v[72:73]
	v_fma_f64 v[116:117], v[163:164], s[18:19], -v[197:198]
	s_delay_alu instid0(VALU_DEP_1) | instskip(SKIP_1) | instid1(VALU_DEP_1)
	v_add_f64_e32 v[74:75], v[116:117], v[74:75]
	v_mul_f64_e32 v[116:117], s[38:39], v[52:53]
	v_fma_f64 v[52:53], v[122:123], s[24:25], v[116:117]
	s_delay_alu instid0(VALU_DEP_1) | instskip(NEXT) | instid1(VALU_DEP_1)
	v_add_f64_e32 v[52:53], v[20:21], v[52:53]
	v_add_f64_e32 v[52:53], v[54:55], v[52:53]
	v_fma_f64 v[54:55], v[159:160], s[24:25], -v[120:121]
	s_delay_alu instid0(VALU_DEP_1) | instskip(NEXT) | instid1(VALU_DEP_1)
	v_add_f64_e32 v[54:55], v[22:23], v[54:55]
	v_add_f64_e32 v[54:55], v[100:101], v[54:55]
	v_fma_f64 v[100:101], v[110:111], s[22:23], v[235:236]
	s_delay_alu instid0(VALU_DEP_1) | instskip(SKIP_1) | instid1(VALU_DEP_1)
	v_add_f64_e32 v[52:53], v[100:101], v[52:53]
	v_fma_f64 v[100:101], v[118:119], s[22:23], -v[247:248]
	v_add_f64_e32 v[54:55], v[100:101], v[54:55]
	v_fma_f64 v[100:101], v[114:115], s[4:5], v[237:238]
	s_delay_alu instid0(VALU_DEP_1) | instskip(SKIP_1) | instid1(VALU_DEP_1)
	v_add_f64_e32 v[52:53], v[100:101], v[52:53]
	v_fma_f64 v[100:101], v[130:131], s[4:5], -v[104:105]
	;; [unrolled: 5-line block ×4, first 2 shown]
	v_add_f64_e32 v[54:55], v[100:101], v[54:55]
	v_fma_f64 v[100:101], v[142:143], s[18:19], v[245:246]
	s_delay_alu instid0(VALU_DEP_1) | instskip(SKIP_1) | instid1(VALU_DEP_1)
	v_add_f64_e32 v[52:53], v[100:101], v[52:53]
	v_mul_f64_e32 v[100:101], s[30:31], v[132:133]
	v_fma_f64 v[124:125], v[154:155], s[18:19], -v[100:101]
	s_delay_alu instid0(VALU_DEP_1) | instskip(SKIP_1) | instid1(VALU_DEP_1)
	v_add_f64_e32 v[54:55], v[124:125], v[54:55]
	v_fma_f64 v[124:125], v[150:151], s[16:17], v[243:244]
	v_add_f64_e32 v[52:53], v[124:125], v[52:53]
	v_fma_f64 v[124:125], v[163:164], s[16:17], -v[249:250]
	s_delay_alu instid0(VALU_DEP_1)
	v_add_f64_e32 v[54:55], v[124:125], v[54:55]
	s_and_saveexec_b32 s0, vcc_lo
	s_cbranch_execz .LBB0_7
; %bb.6:
	scratch_load_b64 v[0:1], off, off offset:596 th:TH_LOAD_LU ; 8-byte Folded Reload
	v_add_f64_e32 v[42:43], v[22:23], v[42:43]
	v_add_f64_e32 v[40:41], v[20:21], v[40:41]
	s_delay_alu instid0(VALU_DEP_2) | instskip(NEXT) | instid1(VALU_DEP_2)
	v_add_f64_e32 v[42:43], v[42:43], v[46:47]
	v_add_f64_e32 v[40:41], v[40:41], v[44:45]
	v_mul_f64_e32 v[44:45], s[16:17], v[159:160]
	v_mul_f64_e32 v[46:47], s[16:17], v[122:123]
	s_delay_alu instid0(VALU_DEP_4) | instskip(NEXT) | instid1(VALU_DEP_4)
	v_add_f64_e32 v[42:43], v[42:43], v[50:51]
	v_add_f64_e32 v[40:41], v[40:41], v[48:49]
	s_delay_alu instid0(VALU_DEP_4)
	v_add_f64_e32 v[44:45], v[221:222], v[44:45]
	v_mul_f64_e32 v[50:51], s[6:7], v[122:123]
	v_mul_f64_e32 v[48:49], s[6:7], v[159:160]
	v_add_f64_e64 v[46:47], v[46:47], -v[219:220]
	v_add_f64_e32 v[42:43], v[42:43], v[62:63]
	v_mul_f64_e32 v[62:63], s[4:5], v[122:123]
	v_add_f64_e32 v[40:41], v[40:41], v[60:61]
	v_mul_f64_e32 v[60:61], s[4:5], v[159:160]
	v_add_f64_e64 v[50:51], v[50:51], -v[215:216]
	v_add_f64_e32 v[48:49], v[217:218], v[48:49]
	v_add_f64_e32 v[42:43], v[42:43], v[66:67]
	v_mul_f64_e32 v[66:67], s[2:3], v[122:123]
	v_add_f64_e32 v[40:41], v[40:41], v[64:65]
	v_mul_f64_e32 v[64:65], s[2:3], v[159:160]
	v_add_f64_e32 v[60:61], v[173:174], v[60:61]
	v_add_f64_e32 v[42:43], v[42:43], v[70:71]
	s_delay_alu instid0(VALU_DEP_4) | instskip(NEXT) | instid1(VALU_DEP_2)
	v_add_f64_e32 v[40:41], v[40:41], v[68:69]
	v_add_f64_e32 v[42:43], v[42:43], v[78:79]
	s_delay_alu instid0(VALU_DEP_2) | instskip(NEXT) | instid1(VALU_DEP_2)
	v_add_f64_e32 v[40:41], v[40:41], v[76:77]
	v_add_f64_e32 v[42:43], v[42:43], v[86:87]
	s_delay_alu instid0(VALU_DEP_2) | instskip(SKIP_1) | instid1(VALU_DEP_3)
	v_add_f64_e32 v[40:41], v[40:41], v[84:85]
	v_mul_f64_e32 v[84:85], s[22:23], v[110:111]
	v_add_f64_e32 v[42:43], v[42:43], v[90:91]
	s_delay_alu instid0(VALU_DEP_3) | instskip(NEXT) | instid1(VALU_DEP_3)
	v_add_f64_e32 v[40:41], v[40:41], v[88:89]
	v_add_f64_e64 v[84:85], v[84:85], -v[235:236]
	s_wait_loadcnt 0x0
	v_add_f64_e64 v[62:63], v[62:63], -v[0:1]
	scratch_load_b64 v[0:1], off, off offset:212 th:TH_LOAD_LU ; 8-byte Folded Reload
	v_add_f64_e32 v[42:43], v[42:43], v[94:95]
	v_add_f64_e32 v[40:41], v[40:41], v[92:93]
	s_delay_alu instid0(VALU_DEP_2) | instskip(NEXT) | instid1(VALU_DEP_2)
	v_add_f64_e32 v[42:43], v[42:43], v[98:99]
	v_add_f64_e32 v[40:41], v[40:41], v[96:97]
	s_delay_alu instid0(VALU_DEP_2) | instskip(SKIP_1) | instid1(VALU_DEP_3)
	v_add_f64_e32 v[42:43], v[42:43], v[82:83]
	v_mul_f64_e32 v[82:83], s[2:3], v[102:103]
	v_add_f64_e32 v[40:41], v[40:41], v[80:81]
	v_mul_f64_e32 v[80:81], s[20:21], v[126:127]
	s_delay_alu instid0(VALU_DEP_4) | instskip(NEXT) | instid1(VALU_DEP_4)
	v_add_f64_e32 v[38:39], v[42:43], v[38:39]
	v_add_f64_e64 v[82:83], v[82:83], -v[231:232]
	s_delay_alu instid0(VALU_DEP_4)
	v_add_f64_e32 v[36:37], v[40:41], v[36:37]
	v_mul_f64_e32 v[40:41], s[18:19], v[159:160]
	v_mul_f64_e32 v[42:43], s[18:19], v[122:123]
	v_add_f64_e64 v[80:81], v[80:81], -v[251:252]
	v_add_f64_e32 v[34:35], v[38:39], v[34:35]
	v_mul_f64_e32 v[38:39], s[20:21], v[122:123]
	v_add_f64_e32 v[32:33], v[36:37], v[32:33]
	v_mul_f64_e32 v[36:37], s[20:21], v[159:160]
	v_add_f64_e32 v[40:41], v[225:226], v[40:41]
	v_add_f64_e64 v[42:43], v[42:43], -v[223:224]
	v_add_f64_e32 v[30:31], v[34:35], v[30:31]
	v_mul_f64_e32 v[34:35], s[22:23], v[122:123]
	v_add_f64_e32 v[28:29], v[32:33], v[28:29]
	v_add_f64_e32 v[36:37], v[229:230], v[36:37]
	v_mul_f64_e32 v[32:33], s[22:23], v[159:160]
	v_add_f64_e64 v[38:39], v[38:39], -v[227:228]
	v_add_f64_e32 v[40:41], v[22:23], v[40:41]
	v_add_f64_e32 v[42:43], v[20:21], v[42:43]
	;; [unrolled: 1-line block ×3, first 2 shown]
	v_mul_f64_e32 v[30:31], s[24:25], v[122:123]
	v_add_f64_e32 v[24:25], v[28:29], v[24:25]
	v_mul_f64_e32 v[28:29], s[24:25], v[159:160]
	v_add_f64_e64 v[34:35], v[34:35], -v[233:234]
	v_add_f64_e32 v[76:77], v[22:23], v[36:37]
	v_add_f64_e32 v[36:37], v[22:23], v[44:45]
	;; [unrolled: 1-line block ×7, first 2 shown]
	v_add_f64_e64 v[30:31], v[30:31], -v[116:117]
	v_add_f64_e32 v[28:29], v[120:121], v[28:29]
	v_add_f64_e32 v[70:71], v[20:21], v[34:35]
	;; [unrolled: 1-line block ×3, first 2 shown]
	v_mul_f64_e32 v[50:51], s[22:23], v[118:119]
	v_add_f64_e32 v[68:69], v[22:23], v[32:33]
	v_add_f64_e32 v[32:33], v[22:23], v[48:49]
	v_mul_f64_e32 v[48:49], s[4:5], v[130:131]
	s_wait_loadcnt 0x0
	v_add_f64_e32 v[64:65], v[0:1], v[64:65]
	scratch_load_b64 v[0:1], off, off offset:124 th:TH_LOAD_LU ; 8-byte Folded Reload
	v_add_f64_e32 v[30:31], v[20:21], v[30:31]
	v_add_f64_e32 v[28:29], v[22:23], v[28:29]
	;; [unrolled: 1-line block ×5, first 2 shown]
	v_mul_f64_e32 v[64:65], s[2:3], v[106:107]
	v_mul_f64_e32 v[22:23], s[20:21], v[138:139]
	v_add_f64_e32 v[30:31], v[82:83], v[30:31]
	v_mul_f64_e32 v[82:83], s[16:17], v[102:103]
	s_delay_alu instid0(VALU_DEP_4) | instskip(NEXT) | instid1(VALU_DEP_4)
	v_add_f64_e32 v[64:65], v[239:240], v[64:65]
	v_add_f64_e32 v[22:23], v[108:109], v[22:23]
	s_delay_alu instid0(VALU_DEP_4) | instskip(SKIP_1) | instid1(VALU_DEP_4)
	v_add_f64_e32 v[30:31], v[84:85], v[30:31]
	v_mul_f64_e32 v[84:85], s[20:21], v[110:111]
	v_add_f64_e32 v[28:29], v[64:65], v[28:29]
	v_mul_f64_e32 v[64:65], s[4:5], v[114:115]
	s_delay_alu instid0(VALU_DEP_2) | instskip(NEXT) | instid1(VALU_DEP_2)
	v_add_f64_e32 v[28:29], v[50:51], v[28:29]
	v_add_f64_e64 v[64:65], v[64:65], -v[237:238]
	v_mul_f64_e32 v[50:51], s[18:19], v[154:155]
	s_delay_alu instid0(VALU_DEP_3) | instskip(NEXT) | instid1(VALU_DEP_3)
	v_add_f64_e32 v[28:29], v[48:49], v[28:29]
	v_add_f64_e32 v[30:31], v[64:65], v[30:31]
	v_mul_f64_e32 v[48:49], s[18:19], v[142:143]
	s_delay_alu instid0(VALU_DEP_4)
	v_add_f64_e32 v[50:51], v[100:101], v[50:51]
	v_mul_f64_e32 v[64:65], s[16:17], v[106:107]
	v_add_f64_e32 v[22:23], v[22:23], v[28:29]
	v_add_f64_e32 v[28:29], v[80:81], v[30:31]
	v_add_f64_e64 v[48:49], v[48:49], -v[245:246]
	v_mul_f64_e32 v[30:31], s[16:17], v[163:164]
	v_mul_f64_e32 v[80:81], s[24:25], v[114:115]
	s_delay_alu instid0(VALU_DEP_2)
	v_add_f64_e32 v[30:31], v[249:250], v[30:31]
	s_wait_loadcnt 0x0
	v_add_f64_e64 v[66:67], v[66:67], -v[0:1]
	scratch_load_b64 v[0:1], off, off offset:348 th:TH_LOAD_LU ; 8-byte Folded Reload
	v_add_f64_e32 v[62:63], v[20:21], v[66:67]
	v_mul_f64_e32 v[20:21], s[6:7], v[146:147]
	v_mul_f64_e32 v[66:67], s[6:7], v[134:135]
	s_delay_alu instid0(VALU_DEP_2) | instskip(NEXT) | instid1(VALU_DEP_2)
	v_add_f64_e32 v[20:21], v[112:113], v[20:21]
	v_add_f64_e64 v[66:67], v[66:67], -v[253:254]
	s_delay_alu instid0(VALU_DEP_2) | instskip(NEXT) | instid1(VALU_DEP_2)
	v_add_f64_e32 v[20:21], v[20:21], v[22:23]
	v_add_f64_e32 v[22:23], v[66:67], v[28:29]
	v_mul_f64_e32 v[28:29], s[16:17], v[150:151]
	v_mul_f64_e32 v[66:67], s[22:23], v[126:127]
	s_delay_alu instid0(VALU_DEP_4) | instskip(NEXT) | instid1(VALU_DEP_4)
	v_add_f64_e32 v[20:21], v[50:51], v[20:21]
	v_add_f64_e32 v[48:49], v[48:49], v[22:23]
	s_delay_alu instid0(VALU_DEP_4) | instskip(SKIP_1) | instid1(VALU_DEP_4)
	v_add_f64_e64 v[28:29], v[28:29], -v[243:244]
	v_mul_f64_e32 v[50:51], s[20:21], v[118:119]
	v_add_f64_e32 v[22:23], v[30:31], v[20:21]
	v_mul_f64_e32 v[30:31], s[22:23], v[138:139]
	s_delay_alu instid0(VALU_DEP_4) | instskip(SKIP_3) | instid1(VALU_DEP_2)
	v_add_f64_e32 v[20:21], v[28:29], v[48:49]
	v_mul_f64_e32 v[28:29], s[18:19], v[146:147]
	v_mul_f64_e32 v[48:49], s[24:25], v[130:131]
	s_wait_loadcnt 0x0
	v_add_f64_e32 v[28:29], v[0:1], v[28:29]
	scratch_load_b64 v[0:1], off, off offset:316 th:TH_LOAD_LU ; 8-byte Folded Reload
	s_wait_loadcnt 0x0
	v_add_f64_e32 v[30:31], v[0:1], v[30:31]
	scratch_load_b64 v[0:1], off, off offset:292 th:TH_LOAD_LU ; 8-byte Folded Reload
	;; [unrolled: 3-line block ×5, first 2 shown]
	v_add_f64_e32 v[44:45], v[64:65], v[44:45]
	v_mul_f64_e32 v[64:65], s[18:19], v[134:135]
	s_delay_alu instid0(VALU_DEP_2) | instskip(SKIP_1) | instid1(VALU_DEP_2)
	v_add_f64_e32 v[44:45], v[50:51], v[44:45]
	v_mul_f64_e32 v[50:51], s[6:7], v[154:155]
	v_add_f64_e32 v[44:45], v[48:49], v[44:45]
	v_mul_f64_e32 v[48:49], s[6:7], v[142:143]
	s_delay_alu instid0(VALU_DEP_2) | instskip(NEXT) | instid1(VALU_DEP_1)
	v_add_f64_e32 v[30:31], v[30:31], v[44:45]
	v_add_f64_e32 v[28:29], v[28:29], v[30:31]
	s_wait_loadcnt 0x0
	v_add_f64_e64 v[66:67], v[66:67], -v[0:1]
	scratch_load_b64 v[0:1], off, off offset:252 th:TH_LOAD_LU ; 8-byte Folded Reload
	s_wait_loadcnt 0x0
	v_add_f64_e64 v[80:81], v[80:81], -v[0:1]
	scratch_load_b64 v[0:1], off, off offset:228 th:TH_LOAD_LU ; 8-byte Folded Reload
	;; [unrolled: 3-line block ×3, first 2 shown]
	v_add_f64_e32 v[46:47], v[82:83], v[46:47]
	v_mul_f64_e32 v[82:83], s[20:21], v[102:103]
	s_delay_alu instid0(VALU_DEP_1) | instskip(NEXT) | instid1(VALU_DEP_1)
	v_add_f64_e64 v[82:83], v[82:83], -v[4:5]
	v_add_f64_e32 v[34:35], v[82:83], v[34:35]
	v_mul_f64_e32 v[82:83], s[24:25], v[102:103]
	s_delay_alu instid0(VALU_DEP_1) | instskip(NEXT) | instid1(VALU_DEP_1)
	v_add_f64_e64 v[82:83], v[82:83], -v[8:9]
	;; [unrolled: 4-line block ×3, first 2 shown]
	v_add_f64_e32 v[42:43], v[82:83], v[42:43]
	v_mul_f64_e32 v[82:83], s[18:19], v[102:103]
	s_delay_alu instid0(VALU_DEP_1)
	v_add_f64_e64 v[82:83], v[82:83], -v[14:15]
	s_wait_loadcnt 0x0
	v_add_f64_e64 v[84:85], v[84:85], -v[0:1]
	scratch_load_b64 v[0:1], off, off offset:268 th:TH_LOAD_LU ; 8-byte Folded Reload
	v_add_f64_e32 v[46:47], v[84:85], v[46:47]
	v_mul_f64_e32 v[84:85], s[24:25], v[110:111]
	s_delay_alu instid0(VALU_DEP_2) | instskip(SKIP_1) | instid1(VALU_DEP_3)
	v_add_f64_e32 v[46:47], v[80:81], v[46:47]
	v_mul_f64_e32 v[80:81], s[4:5], v[126:127]
	v_add_f64_e64 v[84:85], v[84:85], -v[6:7]
	s_delay_alu instid0(VALU_DEP_3) | instskip(SKIP_2) | instid1(VALU_DEP_4)
	v_add_f64_e32 v[44:45], v[66:67], v[46:47]
	v_mul_f64_e32 v[46:47], s[2:3], v[163:164]
	v_mul_f64_e32 v[66:67], s[2:3], v[134:135]
	v_add_f64_e32 v[34:35], v[84:85], v[34:35]
	v_mul_f64_e32 v[84:85], s[18:19], v[110:111]
	s_delay_alu instid0(VALU_DEP_1) | instskip(NEXT) | instid1(VALU_DEP_1)
	v_add_f64_e64 v[84:85], v[84:85], -v[10:11]
	v_add_f64_e32 v[38:39], v[84:85], v[38:39]
	v_mul_f64_e32 v[84:85], s[4:5], v[110:111]
	s_delay_alu instid0(VALU_DEP_1) | instskip(NEXT) | instid1(VALU_DEP_1)
	v_add_f64_e64 v[84:85], v[84:85], -v[12:13]
	v_add_f64_e32 v[42:43], v[84:85], v[42:43]
	v_mul_f64_e32 v[84:85], s[2:3], v[110:111]
	s_wait_loadcnt 0x0
	v_add_f64_e64 v[64:65], v[64:65], -v[0:1]
	scratch_load_b64 v[0:1], off, off offset:324 th:TH_LOAD_LU ; 8-byte Folded Reload
	v_add_f64_e32 v[30:31], v[64:65], v[44:45]
	v_mul_f64_e32 v[44:45], s[2:3], v[150:151]
	v_mul_f64_e32 v[64:65], s[20:21], v[106:107]
	s_wait_loadcnt 0x0
	v_add_f64_e32 v[50:51], v[0:1], v[50:51]
	scratch_load_b64 v[0:1], off, off offset:276 th:TH_LOAD_LU ; 8-byte Folded Reload
	v_add_f64_e32 v[28:29], v[50:51], v[28:29]
	v_mul_f64_e32 v[50:51], s[24:25], v[118:119]
	s_wait_loadcnt 0x0
	v_add_f64_e64 v[48:49], v[48:49], -v[0:1]
	scratch_load_b64 v[0:1], off, off offset:340 th:TH_LOAD_LU ; 8-byte Folded Reload
	v_add_f64_e32 v[48:49], v[48:49], v[30:31]
	s_wait_loadcnt 0x0
	v_add_f64_e32 v[46:47], v[0:1], v[46:47]
	scratch_load_b64 v[0:1], off, off offset:300 th:TH_LOAD_LU ; 8-byte Folded Reload
	v_add_f64_e32 v[30:31], v[46:47], v[28:29]
	v_mul_f64_e32 v[46:47], s[4:5], v[138:139]
	s_wait_loadcnt 0x0
	v_add_f64_e64 v[44:45], v[44:45], -v[0:1]
	scratch_load_b64 v[0:1], off, off offset:612 th:TH_LOAD_LU ; 8-byte Folded Reload
	v_add_f64_e32 v[28:29], v[44:45], v[48:49]
	v_mul_f64_e32 v[44:45], s[2:3], v[146:147]
	v_mul_f64_e32 v[48:49], s[18:19], v[130:131]
	s_wait_loadcnt 0x0
	s_delay_alu instid0(VALU_DEP_2)
	v_add_f64_e32 v[44:45], v[0:1], v[44:45]
	scratch_load_b64 v[0:1], off, off offset:500 th:TH_LOAD_LU ; 8-byte Folded Reload
	s_wait_loadcnt 0x0
	v_add_f64_e32 v[46:47], v[0:1], v[46:47]
	scratch_load_b64 v[0:1], off, off offset:404 th:TH_LOAD_LU ; 8-byte Folded Reload
	s_wait_loadcnt 0x0
	;; [unrolled: 3-line block ×4, first 2 shown]
	v_add_f64_e32 v[64:65], v[0:1], v[64:65]
	scratch_load_b64 v[0:1], off, off offset:460 th:TH_LOAD_LU ; 8-byte Folded Reload
	v_add_f64_e32 v[32:33], v[64:65], v[32:33]
	v_mul_f64_e32 v[64:65], s[18:19], v[114:115]
	s_delay_alu instid0(VALU_DEP_2) | instskip(SKIP_1) | instid1(VALU_DEP_2)
	v_add_f64_e32 v[32:33], v[50:51], v[32:33]
	v_mul_f64_e32 v[50:51], s[16:17], v[154:155]
	v_add_f64_e32 v[32:33], v[48:49], v[32:33]
	v_mul_f64_e32 v[48:49], s[16:17], v[142:143]
	s_delay_alu instid0(VALU_DEP_2) | instskip(SKIP_1) | instid1(VALU_DEP_2)
	v_add_f64_e32 v[32:33], v[46:47], v[32:33]
	v_mul_f64_e32 v[46:47], s[22:23], v[163:164]
	v_add_f64_e32 v[32:33], v[44:45], v[32:33]
	v_mul_f64_e32 v[44:45], s[22:23], v[150:151]
	s_wait_loadcnt 0x0
	v_add_f64_e64 v[66:67], v[66:67], -v[0:1]
	scratch_load_b64 v[0:1], off, off offset:396 th:TH_LOAD_LU ; 8-byte Folded Reload
	s_wait_loadcnt 0x0
	v_add_f64_e64 v[80:81], v[80:81], -v[0:1]
	scratch_load_b64 v[0:1], off, off offset:308 th:TH_LOAD_LU ; 8-byte Folded Reload
	;; [unrolled: 3-line block ×3, first 2 shown]
	v_add_f64_e32 v[34:35], v[64:65], v[34:35]
	v_mul_f64_e32 v[64:65], s[24:25], v[106:107]
	s_delay_alu instid0(VALU_DEP_2) | instskip(SKIP_1) | instid1(VALU_DEP_2)
	v_add_f64_e32 v[34:35], v[80:81], v[34:35]
	v_mul_f64_e32 v[80:81], s[6:7], v[126:127]
	v_add_f64_e32 v[34:35], v[66:67], v[34:35]
	v_mul_f64_e32 v[66:67], s[22:23], v[134:135]
	s_wait_loadcnt 0x0
	v_add_f64_e32 v[50:51], v[0:1], v[50:51]
	scratch_load_b64 v[0:1], off, off offset:380 th:TH_LOAD_LU ; 8-byte Folded Reload
	v_add_f64_e32 v[32:33], v[50:51], v[32:33]
	v_mul_f64_e32 v[50:51], s[18:19], v[118:119]
	s_wait_loadcnt 0x0
	v_add_f64_e64 v[48:49], v[48:49], -v[0:1]
	scratch_load_b64 v[0:1], off, off offset:420 th:TH_LOAD_LU ; 8-byte Folded Reload
	v_add_f64_e32 v[48:49], v[48:49], v[34:35]
	s_wait_loadcnt 0x0
	v_add_f64_e32 v[46:47], v[0:1], v[46:47]
	scratch_load_b64 v[0:1], off, off offset:356 th:TH_LOAD_LU ; 8-byte Folded Reload
	v_add_f64_e32 v[34:35], v[46:47], v[32:33]
	v_mul_f64_e32 v[46:47], s[6:7], v[138:139]
	s_delay_alu instid0(VALU_DEP_1)
	v_add_f64_e32 v[46:47], v[148:149], v[46:47]
	s_wait_loadcnt 0x0
	v_add_f64_e64 v[44:45], v[44:45], -v[0:1]
	scratch_load_b64 v[0:1], off, off offset:524 th:TH_LOAD_LU ; 8-byte Folded Reload
	v_add_f64_e32 v[32:33], v[44:45], v[48:49]
	v_mul_f64_e32 v[48:49], s[2:3], v[130:131]
	v_mul_f64_e32 v[44:45], s[22:23], v[146:147]
	s_delay_alu instid0(VALU_DEP_1) | instskip(SKIP_1) | instid1(VALU_DEP_3)
	v_add_f64_e32 v[44:45], v[181:182], v[44:45]
	s_wait_loadcnt 0x0
	v_add_f64_e32 v[48:49], v[0:1], v[48:49]
	scratch_load_b64 v[0:1], off, off offset:444 th:TH_LOAD_LU ; 8-byte Folded Reload
	s_wait_loadcnt 0x0
	v_add_f64_e32 v[50:51], v[0:1], v[50:51]
	scratch_load_b64 v[0:1], off, off offset:388 th:TH_LOAD_LU ; 8-byte Folded Reload
	;; [unrolled: 3-line block ×3, first 2 shown]
	v_add_f64_e32 v[36:37], v[64:65], v[36:37]
	v_mul_f64_e32 v[64:65], s[2:3], v[114:115]
	s_delay_alu instid0(VALU_DEP_2) | instskip(SKIP_1) | instid1(VALU_DEP_2)
	v_add_f64_e32 v[36:37], v[50:51], v[36:37]
	v_mul_f64_e32 v[50:51], s[20:21], v[154:155]
	v_add_f64_e32 v[36:37], v[48:49], v[36:37]
	v_mul_f64_e32 v[48:49], s[20:21], v[142:143]
	s_delay_alu instid0(VALU_DEP_2) | instskip(SKIP_1) | instid1(VALU_DEP_2)
	v_add_f64_e32 v[36:37], v[46:47], v[36:37]
	v_mul_f64_e32 v[46:47], s[4:5], v[163:164]
	v_add_f64_e32 v[36:37], v[44:45], v[36:37]
	v_mul_f64_e32 v[44:45], s[4:5], v[150:151]
	s_wait_loadcnt 0x0
	v_add_f64_e64 v[66:67], v[66:67], -v[0:1]
	scratch_load_b64 v[0:1], off, off offset:476 th:TH_LOAD_LU ; 8-byte Folded Reload
	s_wait_loadcnt 0x0
	v_add_f64_e64 v[80:81], v[80:81], -v[0:1]
	scratch_load_b64 v[0:1], off, off offset:372 th:TH_LOAD_LU ; 8-byte Folded Reload
	;; [unrolled: 3-line block ×3, first 2 shown]
	v_add_f64_e32 v[38:39], v[64:65], v[38:39]
	v_mul_f64_e32 v[64:65], s[22:23], v[106:107]
	s_delay_alu instid0(VALU_DEP_2) | instskip(SKIP_1) | instid1(VALU_DEP_2)
	v_add_f64_e32 v[38:39], v[80:81], v[38:39]
	v_mul_f64_e32 v[80:81], s[24:25], v[126:127]
	v_add_f64_e32 v[38:39], v[66:67], v[38:39]
	v_mul_f64_e32 v[66:67], s[16:17], v[134:135]
	s_delay_alu instid0(VALU_DEP_1)
	v_add_f64_e64 v[66:67], v[66:67], -v[175:176]
	s_wait_loadcnt 0x0
	v_add_f64_e32 v[50:51], v[0:1], v[50:51]
	scratch_load_b64 v[0:1], off, off offset:468 th:TH_LOAD_LU ; 8-byte Folded Reload
	v_add_f64_e32 v[36:37], v[50:51], v[36:37]
	v_mul_f64_e32 v[50:51], s[4:5], v[118:119]
	s_wait_loadcnt 0x0
	v_add_f64_e64 v[48:49], v[48:49], -v[0:1]
	scratch_load_b64 v[0:1], off, off offset:516 th:TH_LOAD_LU ; 8-byte Folded Reload
	v_add_f64_e32 v[48:49], v[48:49], v[38:39]
	s_wait_loadcnt 0x0
	v_add_f64_e32 v[46:47], v[0:1], v[46:47]
	scratch_load_b64 v[0:1], off, off offset:436 th:TH_LOAD_LU ; 8-byte Folded Reload
	v_add_f64_e32 v[38:39], v[46:47], v[36:37]
	v_mul_f64_e32 v[46:47], s[24:25], v[138:139]
	s_delay_alu instid0(VALU_DEP_1)
	v_add_f64_e32 v[46:47], v[189:190], v[46:47]
	s_wait_loadcnt 0x0
	v_add_f64_e64 v[44:45], v[44:45], -v[0:1]
	scratch_load_b64 v[0:1], off, off offset:548 th:TH_LOAD_LU ; 8-byte Folded Reload
	v_add_f64_e32 v[36:37], v[44:45], v[48:49]
	v_mul_f64_e32 v[48:49], s[6:7], v[130:131]
	v_mul_f64_e32 v[44:45], s[16:17], v[146:147]
	s_delay_alu instid0(VALU_DEP_2) | instskip(NEXT) | instid1(VALU_DEP_2)
	v_add_f64_e32 v[48:49], v[161:162], v[48:49]
	v_add_f64_e32 v[44:45], v[205:206], v[44:45]
	s_wait_loadcnt 0x0
	v_add_f64_e32 v[50:51], v[0:1], v[50:51]
	scratch_load_b64 v[0:1], off, off offset:452 th:TH_LOAD_LU ; 8-byte Folded Reload
	s_wait_loadcnt 0x0
	v_add_f64_e32 v[64:65], v[0:1], v[64:65]
	scratch_load_b64 v[0:1], off, off offset:588 th:TH_LOAD_LU ; 8-byte Folded Reload
	v_add_f64_e32 v[40:41], v[64:65], v[40:41]
	v_mul_f64_e32 v[64:65], s[6:7], v[114:115]
	s_delay_alu instid0(VALU_DEP_2) | instskip(SKIP_1) | instid1(VALU_DEP_2)
	v_add_f64_e32 v[40:41], v[50:51], v[40:41]
	v_mul_f64_e32 v[50:51], s[2:3], v[154:155]
	v_add_f64_e32 v[40:41], v[48:49], v[40:41]
	v_mul_f64_e32 v[48:49], s[2:3], v[142:143]
	s_delay_alu instid0(VALU_DEP_3) | instskip(NEXT) | instid1(VALU_DEP_3)
	v_add_f64_e32 v[50:51], v[165:166], v[50:51]
	v_add_f64_e32 v[40:41], v[46:47], v[40:41]
	v_mul_f64_e32 v[46:47], s[20:21], v[163:164]
	s_delay_alu instid0(VALU_DEP_2) | instskip(SKIP_1) | instid1(VALU_DEP_3)
	v_add_f64_e32 v[40:41], v[44:45], v[40:41]
	v_mul_f64_e32 v[44:45], s[20:21], v[150:151]
	v_add_f64_e32 v[46:47], v[152:153], v[46:47]
	s_delay_alu instid0(VALU_DEP_3) | instskip(SKIP_1) | instid1(VALU_DEP_1)
	v_add_f64_e32 v[40:41], v[50:51], v[40:41]
	v_mul_f64_e32 v[50:51], s[2:3], v[118:119]
	v_add_f64_e32 v[50:51], v[169:170], v[50:51]
	s_wait_loadcnt 0x0
	v_add_f64_e64 v[80:81], v[80:81], -v[0:1]
	scratch_load_b64 v[0:1], off, off offset:428 th:TH_LOAD_LU ; 8-byte Folded Reload
	s_wait_loadcnt 0x0
	v_add_f64_e64 v[64:65], v[64:65], -v[0:1]
	scratch_load_b64 v[0:1], off, off offset:564 th:TH_LOAD_LU ; 8-byte Folded Reload
	v_add_f64_e32 v[42:43], v[64:65], v[42:43]
	v_mul_f64_e32 v[64:65], s[18:19], v[106:107]
	s_delay_alu instid0(VALU_DEP_2) | instskip(SKIP_1) | instid1(VALU_DEP_2)
	v_add_f64_e32 v[42:43], v[80:81], v[42:43]
	v_mul_f64_e32 v[80:81], s[16:17], v[126:127]
	v_add_f64_e32 v[42:43], v[66:67], v[42:43]
	v_mul_f64_e32 v[66:67], s[4:5], v[134:135]
	s_delay_alu instid0(VALU_DEP_3) | instskip(NEXT) | instid1(VALU_DEP_2)
	v_add_f64_e64 v[80:81], v[80:81], -v[171:172]
	v_add_f64_e64 v[66:67], v[66:67], -v[195:196]
	s_wait_loadcnt 0x0
	v_add_f64_e64 v[48:49], v[48:49], -v[0:1]
	scratch_load_b64 v[0:1], off, off offset:540 th:TH_LOAD_LU ; 8-byte Folded Reload
	v_add_f64_e32 v[48:49], v[48:49], v[42:43]
	v_add_f64_e32 v[42:43], v[46:47], v[40:41]
	v_mul_f64_e32 v[46:47], s[16:17], v[138:139]
	s_delay_alu instid0(VALU_DEP_1)
	v_add_f64_e32 v[46:47], v[203:204], v[46:47]
	s_wait_loadcnt 0x0
	v_add_f64_e64 v[44:45], v[44:45], -v[0:1]
	scratch_load_b64 v[0:1], off, off offset:556 th:TH_LOAD_LU ; 8-byte Folded Reload
	v_add_f64_e32 v[40:41], v[44:45], v[48:49]
	v_mul_f64_e32 v[48:49], s[22:23], v[130:131]
	v_mul_f64_e32 v[44:45], s[4:5], v[146:147]
	s_delay_alu instid0(VALU_DEP_2) | instskip(NEXT) | instid1(VALU_DEP_2)
	v_add_f64_e32 v[48:49], v[191:192], v[48:49]
	v_add_f64_e32 v[44:45], v[211:212], v[44:45]
	s_wait_loadcnt 0x0
	v_add_f64_e32 v[64:65], v[0:1], v[64:65]
	scratch_load_b64 v[0:1], off, off offset:492 th:TH_LOAD_LU ; 8-byte Folded Reload
	v_add_f64_e32 v[64:65], v[64:65], v[76:77]
	v_add_f64_e32 v[76:77], v[82:83], v[78:79]
	v_mul_f64_e32 v[78:79], s[22:23], v[114:115]
	v_mul_f64_e32 v[82:83], s[6:7], v[102:103]
	s_delay_alu instid0(VALU_DEP_4) | instskip(NEXT) | instid1(VALU_DEP_1)
	v_add_f64_e32 v[50:51], v[50:51], v[64:65]
	v_add_f64_e32 v[48:49], v[48:49], v[50:51]
	s_delay_alu instid0(VALU_DEP_1) | instskip(NEXT) | instid1(VALU_DEP_1)
	v_add_f64_e32 v[46:47], v[46:47], v[48:49]
	v_add_f64_e32 v[44:45], v[44:45], v[46:47]
	s_wait_loadcnt 0x0
	v_add_f64_e64 v[84:85], v[84:85], -v[0:1]
	scratch_load_b64 v[0:1], off, off offset:508 th:TH_LOAD_LU ; 8-byte Folded Reload
	v_add_f64_e32 v[64:65], v[84:85], v[76:77]
	v_mul_f64_e32 v[84:85], s[16:17], v[110:111]
	v_mul_f64_e32 v[76:77], s[24:25], v[154:155]
	s_delay_alu instid0(VALU_DEP_1) | instskip(NEXT) | instid1(VALU_DEP_1)
	v_add_f64_e32 v[76:77], v[183:184], v[76:77]
	v_add_f64_e32 v[44:45], v[76:77], v[44:45]
	v_mul_f64_e32 v[76:77], s[6:7], v[106:107]
	s_delay_alu instid0(VALU_DEP_1) | instskip(NEXT) | instid1(VALU_DEP_1)
	v_add_f64_e32 v[76:77], v[157:158], v[76:77]
	v_add_f64_e32 v[68:69], v[76:77], v[68:69]
	v_mul_f64_e32 v[76:77], s[20:21], v[114:115]
	s_wait_loadcnt 0x0
	v_add_f64_e64 v[78:79], v[78:79], -v[0:1]
	scratch_load_b64 v[0:1], off, off offset:484 th:TH_LOAD_LU ; 8-byte Folded Reload
	v_add_f64_e32 v[50:51], v[78:79], v[64:65]
	v_mul_f64_e32 v[64:65], s[24:25], v[142:143]
	v_mul_f64_e32 v[78:79], s[24:25], v[134:135]
	s_delay_alu instid0(VALU_DEP_3) | instskip(NEXT) | instid1(VALU_DEP_3)
	v_add_f64_e32 v[48:49], v[80:81], v[50:51]
	v_add_f64_e64 v[64:65], v[64:65], -v[167:168]
	v_mul_f64_e32 v[50:51], s[6:7], v[163:164]
	v_mul_f64_e32 v[80:81], s[2:3], v[126:127]
	v_add_f64_e64 v[78:79], v[78:79], -v[207:208]
	v_add_f64_e32 v[46:47], v[66:67], v[48:49]
	v_mul_f64_e32 v[48:49], s[6:7], v[150:151]
	v_add_f64_e32 v[50:51], v[179:180], v[50:51]
	v_mul_f64_e32 v[66:67], s[16:17], v[118:119]
	v_add_f64_e64 v[80:81], v[80:81], -v[193:194]
	v_add_f64_e32 v[64:65], v[64:65], v[46:47]
	v_add_f64_e64 v[48:49], v[48:49], -v[144:145]
	v_add_f64_e32 v[46:47], v[50:51], v[44:45]
	v_add_f64_e32 v[66:67], v[187:188], v[66:67]
	v_mul_f64_e32 v[50:51], s[2:3], v[138:139]
	s_delay_alu instid0(VALU_DEP_4) | instskip(SKIP_1) | instid1(VALU_DEP_4)
	v_add_f64_e32 v[44:45], v[48:49], v[64:65]
	v_mul_f64_e32 v[64:65], s[20:21], v[130:131]
	v_add_f64_e32 v[66:67], v[66:67], v[68:69]
	v_mul_f64_e32 v[48:49], s[24:25], v[146:147]
	v_add_f64_e32 v[50:51], v[209:210], v[50:51]
	s_delay_alu instid0(VALU_DEP_4) | instskip(NEXT) | instid1(VALU_DEP_3)
	v_add_f64_e32 v[64:65], v[201:202], v[64:65]
	v_add_f64_e32 v[48:49], v[213:214], v[48:49]
	s_delay_alu instid0(VALU_DEP_2) | instskip(NEXT) | instid1(VALU_DEP_1)
	v_add_f64_e32 v[64:65], v[64:65], v[66:67]
	v_add_f64_e32 v[50:51], v[50:51], v[64:65]
	s_wait_loadcnt 0x0
	v_add_f64_e64 v[82:83], v[82:83], -v[0:1]
	scratch_load_b64 v[0:1], off, off offset:580 th:TH_LOAD_LU ; 8-byte Folded Reload
	v_add_f64_e32 v[48:49], v[48:49], v[50:51]
	v_add_f64_e32 v[70:71], v[82:83], v[70:71]
	v_mul_f64_e32 v[82:83], s[18:19], v[126:127]
	s_wait_loadcnt 0x0
	v_add_f64_e64 v[84:85], v[84:85], -v[0:1]
	scratch_load_b64 v[0:1], off, off offset:604 th:TH_LOAD_LU ; 8-byte Folded Reload
	v_add_f64_e32 v[68:69], v[84:85], v[70:71]
	v_mul_f64_e32 v[70:71], s[4:5], v[154:155]
	v_mul_f64_e32 v[84:85], s[20:21], v[146:147]
	s_delay_alu instid0(VALU_DEP_2) | instskip(NEXT) | instid1(VALU_DEP_1)
	v_add_f64_e32 v[70:71], v[199:200], v[70:71]
	v_add_f64_e32 v[48:49], v[70:71], v[48:49]
	v_mul_f64_e32 v[70:71], s[4:5], v[106:107]
	s_wait_loadcnt 0x0
	v_add_f64_e64 v[76:77], v[76:77], -v[0:1]
	scratch_load_b64 v[0:1], off, off offset:172 th:TH_LOAD_LU ; 8-byte Folded Reload
	v_add_f64_e32 v[66:67], v[76:77], v[68:69]
	v_mul_f64_e32 v[68:69], s[4:5], v[142:143]
	v_mul_f64_e32 v[76:77], s[4:5], v[102:103]
	s_delay_alu instid0(VALU_DEP_3) | instskip(NEXT) | instid1(VALU_DEP_3)
	v_add_f64_e32 v[64:65], v[80:81], v[66:67]
	v_add_f64_e64 v[68:69], v[68:69], -v[185:186]
	v_mul_f64_e32 v[66:67], s[18:19], v[163:164]
	v_mul_f64_e32 v[80:81], s[16:17], v[114:115]
	s_delay_alu instid0(VALU_DEP_4) | instskip(SKIP_1) | instid1(VALU_DEP_4)
	v_add_f64_e32 v[50:51], v[78:79], v[64:65]
	v_mul_f64_e32 v[64:65], s[18:19], v[150:151]
	v_add_f64_e32 v[66:67], v[197:198], v[66:67]
	v_mul_f64_e32 v[78:79], s[6:7], v[110:111]
	s_delay_alu instid0(VALU_DEP_4) | instskip(NEXT) | instid1(VALU_DEP_4)
	v_add_f64_e32 v[68:69], v[68:69], v[50:51]
	v_add_f64_e64 v[64:65], v[64:65], -v[177:178]
	s_delay_alu instid0(VALU_DEP_4) | instskip(SKIP_1) | instid1(VALU_DEP_3)
	v_add_f64_e32 v[50:51], v[66:67], v[48:49]
	v_mul_f64_e32 v[66:67], s[16:17], v[130:131]
	v_add_f64_e32 v[48:49], v[64:65], v[68:69]
	v_mul_f64_e32 v[64:65], s[18:19], v[138:139]
	v_mul_f64_e32 v[68:69], s[6:7], v[118:119]
	s_wait_loadcnt 0x0
	s_delay_alu instid0(VALU_DEP_2)
	v_add_f64_e32 v[64:65], v[0:1], v[64:65]
	scratch_load_b64 v[0:1], off, off offset:156 th:TH_LOAD_LU ; 8-byte Folded Reload
	s_wait_loadcnt 0x0
	v_add_f64_e32 v[66:67], v[0:1], v[66:67]
	scratch_load_b64 v[0:1], off, off offset:112 th:TH_LOAD_LU ; 8-byte Folded Reload
	s_wait_loadcnt 0x0
	;; [unrolled: 3-line block ×3, first 2 shown]
	v_add_f64_e32 v[70:71], v[0:1], v[70:71]
	scratch_load_b64 v[0:1], off, off offset:80 th:TH_LOAD_LU ; 8-byte Folded Reload
	v_add_f64_e32 v[60:61], v[70:71], v[60:61]
	v_mul_f64_e32 v[70:71], s[20:21], v[134:135]
	s_delay_alu instid0(VALU_DEP_2) | instskip(SKIP_1) | instid1(VALU_DEP_2)
	v_add_f64_e32 v[60:61], v[68:69], v[60:61]
	v_mul_f64_e32 v[68:69], s[22:23], v[154:155]
	v_add_f64_e32 v[60:61], v[66:67], v[60:61]
	v_mul_f64_e32 v[66:67], s[22:23], v[142:143]
	s_delay_alu instid0(VALU_DEP_2)
	v_add_f64_e32 v[60:61], v[64:65], v[60:61]
	v_mul_f64_e32 v[64:65], s[24:25], v[163:164]
	s_wait_loadcnt 0x0
	v_add_f64_e64 v[76:77], v[76:77], -v[0:1]
	scratch_load_b64 v[0:1], off, off offset:96 th:TH_LOAD_LU ; 8-byte Folded Reload
	v_add_f64_e32 v[62:63], v[76:77], v[62:63]
	s_wait_loadcnt 0x0
	v_add_f64_e64 v[78:79], v[78:79], -v[0:1]
	scratch_load_b64 v[0:1], off, off offset:104 th:TH_LOAD_LU ; 8-byte Folded Reload
	v_add_f64_e32 v[62:63], v[78:79], v[62:63]
	s_wait_loadcnt 0x0
	v_add_f64_e64 v[80:81], v[80:81], -v[0:1]
	scratch_load_b64 v[0:1], off, off offset:140 th:TH_LOAD_LU ; 8-byte Folded Reload
	v_add_f64_e32 v[62:63], v[80:81], v[62:63]
	s_wait_loadcnt 0x0
	v_add_f64_e64 v[82:83], v[82:83], -v[0:1]
	scratch_load_b64 v[0:1], off, off offset:188 th:TH_LOAD_LU ; 8-byte Folded Reload
	v_add_f64_e32 v[62:63], v[82:83], v[62:63]
	s_wait_loadcnt 0x0
	v_add_f64_e32 v[84:85], v[0:1], v[84:85]
	scratch_load_b64 v[0:1], off, off offset:164 th:TH_LOAD_LU ; 8-byte Folded Reload
	v_add_f64_e32 v[60:61], v[84:85], v[60:61]
	s_wait_loadcnt 0x0
	v_add_f64_e64 v[70:71], v[70:71], -v[0:1]
	scratch_load_b64 v[0:1], off, off offset:204 th:TH_LOAD_LU ; 8-byte Folded Reload
	v_add_f64_e32 v[62:63], v[70:71], v[62:63]
	v_mul_f64_e32 v[70:71], s[24:25], v[150:151]
	s_wait_loadcnt 0x0
	v_add_f64_e32 v[68:69], v[0:1], v[68:69]
	scratch_load_b64 v[0:1], off, off offset:180 th:TH_LOAD_LU ; 8-byte Folded Reload
	v_add_f64_e32 v[60:61], v[68:69], v[60:61]
	s_wait_loadcnt 0x0
	v_add_f64_e64 v[66:67], v[66:67], -v[0:1]
	scratch_load_b64 v[0:1], off, off offset:220 th:TH_LOAD_LU ; 8-byte Folded Reload
	v_add_f64_e32 v[66:67], v[66:67], v[62:63]
	s_wait_loadcnt 0x0
	v_add_f64_e32 v[64:65], v[0:1], v[64:65]
	scratch_load_b64 v[0:1], off, off offset:196 th:TH_LOAD_LU ; 8-byte Folded Reload
	v_add_f64_e32 v[62:63], v[64:65], v[60:61]
	s_wait_loadcnt 0x0
	v_add_f64_e64 v[70:71], v[70:71], -v[0:1]
	v_mul_lo_u16 v0, v255, 17
	s_delay_alu instid0(VALU_DEP_1) | instskip(NEXT) | instid1(VALU_DEP_1)
	v_and_b32_e32 v0, 0xffff, v0
	v_add_lshl_u32 v0, v156, v0, 4
	ds_store_b128 v0, v[28:31] offset:32
	ds_store_b128 v0, v[72:75] offset:160
	;; [unrolled: 1-line block ×4, first 2 shown]
	scratch_load_b128 v[1:4], off, off offset:52 ; 16-byte Folded Reload
	v_add_f64_e32 v[60:61], v[70:71], v[66:67]
	s_wait_loadcnt 0x0
	ds_store_b128 v0, v[1:4] offset:208
	scratch_load_b128 v[1:4], off, off offset:36 ; 16-byte Folded Reload
	s_wait_loadcnt 0x0
	ds_store_b128 v0, v[1:4] offset:224
	scratch_load_b128 v[1:4], off, off offset:20 ; 16-byte Folded Reload
	s_wait_loadcnt 0x0
	ds_store_b128 v0, v[1:4] offset:240
	ds_store_b128 v0, v[32:35] offset:48
	;; [unrolled: 1-line block ×9, first 2 shown]
	ds_store_b128 v0, v[24:27]
	scratch_load_b128 v[1:4], off, off offset:4 ; 16-byte Folded Reload
	s_wait_loadcnt 0x0
	ds_store_b128 v0, v[1:4] offset:256
.LBB0_7:
	s_wait_alu 0xfffe
	s_or_b32 exec_lo, exec_lo, s0
	v_add_lshl_u32 v237, v156, v255, 4
	global_wb scope:SCOPE_SE
	s_wait_storecnt_dscnt 0x0
	s_barrier_signal -1
	s_barrier_wait -1
	global_inv scope:SCOPE_SE
	ds_load_b128 v[64:67], v237
	ds_load_b128 v[60:63], v237 offset:816
	ds_load_b128 v[84:87], v237 offset:5984
	;; [unrolled: 1-line block ×8, first 2 shown]
	v_cmp_gt_u16_e64 s0, 34, v255
	s_delay_alu instid0(VALU_DEP_1)
	s_and_saveexec_b32 s1, s0
	s_cbranch_execz .LBB0_9
; %bb.8:
	ds_load_b128 v[52:55], v237 offset:2448
	ds_load_b128 v[72:75], v237 offset:5440
	;; [unrolled: 1-line block ×3, first 2 shown]
.LBB0_9:
	s_wait_alu 0xfffe
	s_or_b32 exec_lo, exec_lo, s1
	v_and_b32_e32 v0, 0xff, v255
	v_add_nc_u16 v1, v255, 51
	v_add_nc_u16 v2, v255, 0x66
	;; [unrolled: 1-line block ×3, first 2 shown]
	s_mov_b32 s2, 0xe8584caa
	v_mul_lo_u16 v0, 0xf1, v0
	v_and_b32_e32 v3, 0xff, v1
	v_and_b32_e32 v5, 0xff, v2
	;; [unrolled: 1-line block ×3, first 2 shown]
	s_mov_b32 s3, 0x3febb67a
	v_lshrrev_b16 v0, 12, v0
	v_mul_lo_u16 v3, 0xf1, v3
	v_mul_lo_u16 v5, 0xf1, v5
	;; [unrolled: 1-line block ×3, first 2 shown]
	s_mov_b32 s5, 0xbfebb67a
	v_mul_lo_u16 v6, v0, 17
	v_lshrrev_b16 v3, 12, v3
	v_lshrrev_b16 v5, 12, v5
	;; [unrolled: 1-line block ×3, first 2 shown]
	s_wait_alu 0xfffe
	s_mov_b32 s4, s2
	v_sub_nc_u16 v6, v255, v6
	v_mul_lo_u16 v8, v3, 17
	v_mul_lo_u16 v10, v5, 17
	v_and_b32_e32 v3, 0xffff, v3
	s_delay_alu instid0(VALU_DEP_4) | instskip(NEXT) | instid1(VALU_DEP_4)
	v_lshlrev_b16 v9, 1, v6
	v_sub_nc_u16 v1, v1, v8
	s_delay_alu instid0(VALU_DEP_4)
	v_sub_nc_u16 v2, v2, v10
	v_mad_u16 v0, v0, 51, v6
	v_mul_u32_u24_e32 v3, 51, v3
	v_and_b32_e32 v8, 0xfe, v9
	v_mul_lo_u16 v9, v7, 17
	v_and_b32_e32 v1, 0xff, v1
	v_and_b32_e32 v2, 0xff, v2
	;; [unrolled: 1-line block ×3, first 2 shown]
	v_lshlrev_b32_e32 v8, 4, v8
	v_sub_nc_u16 v4, v4, v9
	v_lshlrev_b32_e32 v9, 5, v1
	s_clause 0x1
	global_load_b128 v[40:43], v8, s[10:11]
	global_load_b128 v[36:39], v8, s[10:11] offset:16
	v_and_b32_e32 v8, 0xff, v4
	v_lshlrev_b32_e32 v4, 5, v2
	s_clause 0x1
	global_load_b128 v[48:51], v9, s[10:11]
	global_load_b128 v[44:47], v9, s[10:11] offset:16
	scratch_store_b32 off, v8, off offset:80 ; 4-byte Folded Spill
	v_lshlrev_b32_e32 v8, 5, v8
	s_clause 0x3
	global_load_b128 v[32:35], v4, s[10:11]
	global_load_b128 v[28:31], v4, s[10:11] offset:16
	global_load_b128 v[12:15], v8, s[10:11]
	global_load_b128 v[8:11], v8, s[10:11] offset:16
	v_and_b32_e32 v4, 0xffff, v5
	v_and_b32_e32 v5, 0xffff, v7
	s_delay_alu instid0(VALU_DEP_2) | instskip(SKIP_4) | instid1(VALU_DEP_2)
	v_mul_u32_u24_e32 v4, 51, v4
	scratch_store_b32 off, v5, off offset:88 ; 4-byte Folded Spill
	v_add_lshl_u32 v5, v156, v0, 4
	v_add_nc_u32_e32 v0, v3, v1
	v_add_nc_u32_e32 v1, v4, v2
	v_add_lshl_u32 v2, v156, v0, 4
	s_delay_alu instid0(VALU_DEP_2)
	v_add_lshl_u32 v0, v156, v1, 4
	s_wait_loadcnt_dscnt 0x704
	v_mul_f64_e32 v[100:101], v[98:99], v[42:43]
	v_mul_f64_e32 v[102:103], v[96:97], v[42:43]
	s_wait_loadcnt 0x6
	v_mul_f64_e32 v[104:105], v[86:87], v[38:39]
	v_mul_f64_e32 v[106:107], v[84:85], v[38:39]
	s_wait_loadcnt_dscnt 0x502
	v_mul_f64_e32 v[108:109], v[94:95], v[50:51]
	v_mul_f64_e32 v[110:111], v[92:93], v[50:51]
	s_wait_loadcnt 0x4
	v_mul_f64_e32 v[112:113], v[78:79], v[46:47]
	v_mul_f64_e32 v[114:115], v[76:77], v[46:47]
	s_wait_loadcnt_dscnt 0x301
	v_mul_f64_e32 v[116:117], v[90:91], v[34:35]
	v_mul_f64_e32 v[118:119], v[88:89], v[34:35]
	s_wait_loadcnt_dscnt 0x200
	v_mul_f64_e32 v[120:121], v[82:83], v[30:31]
	v_mul_f64_e32 v[122:123], v[80:81], v[30:31]
	s_wait_loadcnt 0x1
	v_mul_f64_e32 v[124:125], v[74:75], v[14:15]
	v_mul_f64_e32 v[126:127], v[72:73], v[14:15]
	s_wait_loadcnt 0x0
	v_mul_f64_e32 v[128:129], v[58:59], v[10:11]
	v_mul_f64_e32 v[130:131], v[56:57], v[10:11]
	s_clause 0x1
	scratch_store_b128 off, v[8:11], off offset:124
	scratch_store_b128 off, v[12:15], off offset:140
	v_fma_f64 v[96:97], v[96:97], v[40:41], -v[100:101]
	v_fma_f64 v[98:99], v[98:99], v[40:41], v[102:103]
	v_fma_f64 v[84:85], v[84:85], v[36:37], -v[104:105]
	v_fma_f64 v[86:87], v[86:87], v[36:37], v[106:107]
	;; [unrolled: 2-line block ×8, first 2 shown]
	v_add_f64_e32 v[116:117], v[64:65], v[96:97]
	v_add_f64_e32 v[100:101], v[96:97], v[84:85]
	;; [unrolled: 1-line block ×3, first 2 shown]
	v_add_f64_e64 v[118:119], v[98:99], -v[86:87]
	v_add_f64_e32 v[98:99], v[66:67], v[98:99]
	v_add_f64_e32 v[104:105], v[92:93], v[76:77]
	v_add_f64_e32 v[106:107], v[94:95], v[78:79]
	v_add_f64_e64 v[96:97], v[96:97], -v[84:85]
	v_add_f64_e32 v[120:121], v[60:61], v[92:93]
	v_add_f64_e32 v[108:109], v[88:89], v[80:81]
	;; [unrolled: 1-line block ×4, first 2 shown]
	v_add_f64_e64 v[94:95], v[94:95], -v[78:79]
	v_add_f64_e32 v[112:113], v[72:73], v[56:57]
	v_add_f64_e32 v[114:115], v[74:75], v[58:59]
	v_add_f64_e64 v[92:93], v[92:93], -v[76:77]
	v_add_f64_e64 v[128:129], v[90:91], -v[82:83]
	;; [unrolled: 1-line block ×3, first 2 shown]
	v_add_f64_e32 v[124:125], v[68:69], v[88:89]
	v_add_f64_e32 v[126:127], v[70:71], v[90:91]
	v_fma_f64 v[100:101], v[100:101], -0.5, v[64:65]
	v_fma_f64 v[102:103], v[102:103], -0.5, v[66:67]
	v_add_f64_e64 v[66:67], v[72:73], -v[56:57]
	v_fma_f64 v[104:105], v[104:105], -0.5, v[60:61]
	v_fma_f64 v[106:107], v[106:107], -0.5, v[62:63]
	v_add_f64_e64 v[62:63], v[74:75], -v[58:59]
	v_add_f64_e32 v[76:77], v[120:121], v[76:77]
	v_fma_f64 v[108:109], v[108:109], -0.5, v[68:69]
	v_fma_f64 v[110:111], v[110:111], -0.5, v[70:71]
	v_add_f64_e32 v[68:69], v[116:117], v[84:85]
	v_add_f64_e32 v[70:71], v[98:99], v[86:87]
	v_fma_f64 v[60:61], v[112:113], -0.5, v[52:53]
	v_fma_f64 v[64:65], v[114:115], -0.5, v[54:55]
	v_add_f64_e32 v[78:79], v[122:123], v[78:79]
	v_add_f64_e32 v[80:81], v[124:125], v[80:81]
	v_add_f64_e32 v[82:83], v[126:127], v[82:83]
	v_fma_f64 v[84:85], v[118:119], s[2:3], v[100:101]
	s_wait_alu 0xfffe
	v_fma_f64 v[88:89], v[118:119], s[4:5], v[100:101]
	v_fma_f64 v[86:87], v[96:97], s[4:5], v[102:103]
	;; [unrolled: 1-line block ×13, first 2 shown]
	s_load_b128 s[4:7], s[14:15], 0x0
	global_wb scope:SCOPE_SE
	s_wait_storecnt 0x0
	s_wait_kmcnt 0x0
	s_barrier_signal -1
	s_barrier_wait -1
	global_inv scope:SCOPE_SE
	ds_store_b128 v5, v[68:71]
	ds_store_b128 v5, v[84:87] offset:272
	scratch_store_b32 off, v5, off offset:112 ; 4-byte Folded Spill
	ds_store_b128 v5, v[88:91] offset:544
	ds_store_b128 v2, v[76:79]
	ds_store_b128 v2, v[96:99] offset:272
	scratch_store_b32 off, v2, off offset:104 ; 4-byte Folded Spill
	ds_store_b128 v2, v[100:103] offset:544
	;; [unrolled: 4-line block ×3, first 2 shown]
	s_and_saveexec_b32 s1, s0
	s_cbranch_execz .LBB0_11
; %bb.10:
	s_clause 0x1
	scratch_load_b32 v0, off, off offset:88
	scratch_load_b32 v1, off, off offset:80
	v_add_f64_e32 v[68:69], v[54:55], v[74:75]
	v_add_f64_e32 v[52:53], v[52:53], v[72:73]
	v_mul_f64_e32 v[66:67], s[2:3], v[66:67]
	v_mul_f64_e32 v[62:63], s[2:3], v[62:63]
	s_delay_alu instid0(VALU_DEP_4) | instskip(NEXT) | instid1(VALU_DEP_4)
	v_add_f64_e32 v[58:59], v[68:69], v[58:59]
	v_add_f64_e32 v[56:57], v[52:53], v[56:57]
	s_delay_alu instid0(VALU_DEP_4) | instskip(NEXT) | instid1(VALU_DEP_4)
	v_add_f64_e64 v[54:55], v[64:65], -v[66:67]
	v_add_f64_e32 v[52:53], v[62:63], v[60:61]
	s_wait_loadcnt 0x1
	v_mul_u32_u24_e32 v0, 51, v0
	s_wait_loadcnt 0x0
	s_delay_alu instid0(VALU_DEP_1) | instskip(NEXT) | instid1(VALU_DEP_1)
	v_add_nc_u32_e32 v0, v0, v1
	v_add_lshl_u32 v0, v156, v0, 4
	ds_store_b128 v0, v[56:59]
	ds_store_b128 v0, v[52:55] offset:272
	ds_store_b128 v0, v[92:95] offset:544
.LBB0_11:
	s_wait_alu 0xfffe
	s_or_b32 exec_lo, exec_lo, s1
	v_mad_co_u64_u32 v[84:85], null, 0xa0, v255, s[10:11]
	global_wb scope:SCOPE_SE
	s_wait_storecnt_dscnt 0x0
	s_barrier_signal -1
	s_barrier_wait -1
	global_inv scope:SCOPE_SE
	s_mov_b32 s26, 0xf8bb580b
	s_mov_b32 s20, 0x43842ef
	s_clause 0x5
	global_load_b128 v[68:71], v[84:85], off offset:544
	global_load_b128 v[52:55], v[84:85], off offset:688
	;; [unrolled: 1-line block ×6, first 2 shown]
	ds_load_b128 v[76:79], v237 offset:816
	ds_load_b128 v[80:83], v237 offset:8160
	ds_load_b128 v[96:99], v237
	ds_load_b128 v[104:107], v237 offset:7344
	ds_load_b128 v[86:89], v237 offset:1632
	;; [unrolled: 1-line block ×3, first 2 shown]
	s_mov_b32 s24, 0xbb3a28a1
	s_mov_b32 s28, 0xfd768dbf
	;; [unrolled: 1-line block ×19, first 2 shown]
	s_wait_alu 0xfffe
	s_mov_b32 s30, s28
	s_mov_b32 s35, 0x3fefac9e
	;; [unrolled: 1-line block ×5, first 2 shown]
	v_mov_b32_e32 v156, v255
	s_wait_loadcnt_dscnt 0x505
	v_mul_f64_e32 v[90:91], v[78:79], v[70:71]
	v_mul_f64_e32 v[108:109], v[76:77], v[70:71]
	s_wait_loadcnt_dscnt 0x404
	v_mul_f64_e32 v[110:111], v[80:81], v[54:55]
	v_mul_f64_e32 v[112:113], v[82:83], v[54:55]
	;; [unrolled: 3-line block ×3, first 2 shown]
	v_fma_f64 v[118:119], v[76:77], v[68:69], -v[90:91]
	v_fma_f64 v[120:121], v[78:79], v[68:69], v[108:109]
	global_load_b128 v[76:79], v[84:85], off offset:592
	v_fma_f64 v[140:141], v[82:83], v[52:53], v[110:111]
	v_fma_f64 v[142:143], v[80:81], v[52:53], -v[112:113]
	ds_load_b128 v[108:111], v237 offset:6528
	s_wait_loadcnt 0x3
	v_mul_f64_e32 v[80:81], v[104:105], v[62:63]
	v_mul_f64_e32 v[82:83], v[106:107], v[62:63]
	v_fma_f64 v[144:145], v[86:87], v[72:73], -v[114:115]
	s_wait_loadcnt_dscnt 0x201
	v_mul_f64_e32 v[86:87], v[102:103], v[66:67]
	v_fma_f64 v[146:147], v[88:89], v[72:73], v[116:117]
	v_add_f64_e32 v[183:184], v[96:97], v[118:119]
	v_add_f64_e32 v[185:186], v[98:99], v[120:121]
	;; [unrolled: 1-line block ×3, first 2 shown]
	v_fma_f64 v[148:149], v[106:107], v[60:61], v[80:81]
	v_mul_f64_e32 v[80:81], v[100:101], v[66:67]
	v_fma_f64 v[150:151], v[104:105], v[60:61], -v[82:83]
	v_fma_f64 v[152:153], v[100:101], v[64:65], -v[86:87]
	s_wait_loadcnt_dscnt 0x100
	v_mul_f64_e32 v[86:87], v[108:109], v[58:59]
	v_add_f64_e32 v[191:192], v[146:147], v[148:149]
	v_fma_f64 v[154:155], v[102:103], v[64:65], v[80:81]
	global_load_b128 v[80:83], v[84:85], off offset:640
	v_fma_f64 v[157:158], v[110:111], v[56:57], v[86:87]
	v_mul_f64_e32 v[86:87], v[110:111], v[58:59]
	v_add_f64_e32 v[110:111], v[118:119], v[142:143]
	s_delay_alu instid0(VALU_DEP_3) | instskip(NEXT) | instid1(VALU_DEP_3)
	v_add_f64_e32 v[199:200], v[154:155], v[157:158]
	v_fma_f64 v[159:160], v[108:109], v[56:57], -v[86:87]
	ds_load_b128 v[86:89], v237 offset:3264
	ds_load_b128 v[100:103], v237 offset:4080
	v_add_f64_e32 v[195:196], v[152:153], v[159:160]
	s_wait_loadcnt_dscnt 0x101
	v_mul_f64_e32 v[90:91], v[88:89], v[78:79]
	s_delay_alu instid0(VALU_DEP_1) | instskip(SKIP_1) | instid1(VALU_DEP_1)
	v_fma_f64 v[161:162], v[86:87], v[76:77], -v[90:91]
	v_mul_f64_e32 v[86:87], v[86:87], v[78:79]
	v_fma_f64 v[163:164], v[88:89], v[76:77], v[86:87]
	ds_load_b128 v[86:89], v237 offset:5712
	ds_load_b128 v[104:107], v237 offset:4896
	s_wait_loadcnt_dscnt 0x1
	v_mul_f64_e32 v[90:91], v[88:89], v[82:83]
	s_delay_alu instid0(VALU_DEP_1) | instskip(SKIP_1) | instid1(VALU_DEP_2)
	v_fma_f64 v[165:166], v[86:87], v[80:81], -v[90:91]
	v_mul_f64_e32 v[86:87], v[86:87], v[82:83]
	v_add_f64_e32 v[205:206], v[161:162], v[165:166]
	s_delay_alu instid0(VALU_DEP_2)
	v_fma_f64 v[167:168], v[88:89], v[80:81], v[86:87]
	s_clause 0x1
	global_load_b128 v[88:91], v[84:85], off offset:608
	global_load_b128 v[84:87], v[84:85], off offset:624
	v_add_f64_e64 v[209:210], v[161:162], -v[165:166]
	v_add_f64_e64 v[203:204], v[163:164], -v[167:168]
	v_add_f64_e32 v[211:212], v[163:164], v[167:168]
	s_delay_alu instid0(VALU_DEP_3)
	v_mul_f64_e32 v[213:214], s[24:25], v[209:210]
	s_wait_alu 0xfffe
	v_mul_f64_e32 v[238:239], s[34:35], v[209:210]
	v_mul_f64_e32 v[20:21], s[26:27], v[209:210]
	v_mul_f64_e32 v[207:208], s[24:25], v[203:204]
	v_mul_f64_e32 v[235:236], s[34:35], v[203:204]
	v_mul_f64_e32 v[252:253], s[26:27], v[203:204]
	v_mul_f64_e32 v[8:9], s[28:29], v[203:204]
	v_fma_f64 v[22:23], v[211:212], s[18:19], v[20:21]
	s_delay_alu instid0(VALU_DEP_2) | instskip(SKIP_2) | instid1(VALU_DEP_1)
	v_fma_f64 v[10:11], v[205:206], s[2:3], -v[8:9]
	s_wait_loadcnt 0x1
	v_mul_f64_e32 v[108:109], v[102:103], v[90:91]
	v_fma_f64 v[169:170], v[100:101], v[88:89], -v[108:109]
	v_mul_f64_e32 v[100:101], v[100:101], v[90:91]
	s_delay_alu instid0(VALU_DEP_1) | instskip(SKIP_2) | instid1(VALU_DEP_1)
	v_fma_f64 v[171:172], v[102:103], v[88:89], v[100:101]
	s_wait_loadcnt_dscnt 0x0
	v_mul_f64_e32 v[100:101], v[106:107], v[86:87]
	v_fma_f64 v[173:174], v[104:105], v[84:85], -v[100:101]
	v_mul_f64_e32 v[100:101], v[104:105], v[86:87]
	s_delay_alu instid0(VALU_DEP_2) | instskip(NEXT) | instid1(VALU_DEP_2)
	v_add_f64_e32 v[217:218], v[169:170], v[173:174]
	v_fma_f64 v[175:176], v[106:107], v[84:85], v[100:101]
	v_add_f64_e64 v[100:101], v[120:121], -v[140:141]
	v_add_f64_e64 v[221:222], v[169:170], -v[173:174]
	s_delay_alu instid0(VALU_DEP_3) | instskip(NEXT) | instid1(VALU_DEP_3)
	v_add_f64_e64 v[215:216], v[171:172], -v[175:176]
	v_mul_f64_e32 v[102:103], s[26:27], v[100:101]
	v_mul_f64_e32 v[104:105], s[22:23], v[100:101]
	;; [unrolled: 1-line block ×5, first 2 shown]
	v_add_f64_e32 v[223:224], v[171:172], v[175:176]
	v_mul_f64_e32 v[225:226], s[28:29], v[221:222]
	v_mul_f64_e32 v[242:243], s[36:37], v[221:222]
	v_mul_f64_e32 v[219:220], s[28:29], v[215:216]
	v_fma_f64 v[112:113], v[110:111], s[18:19], -v[102:103]
	v_fma_f64 v[102:103], v[110:111], s[18:19], v[102:103]
	v_fma_f64 v[114:115], v[110:111], s[14:15], -v[104:105]
	v_fma_f64 v[104:105], v[110:111], s[14:15], v[104:105]
	;; [unrolled: 2-line block ×5, first 2 shown]
	v_add_f64_e64 v[110:111], v[118:119], -v[142:143]
	v_mul_f64_e32 v[240:241], s[36:37], v[215:216]
	v_mul_f64_e32 v[24:25], s[24:25], v[215:216]
	v_add_f64_e32 v[187:188], v[96:97], v[112:113]
	v_add_f64_e32 v[102:103], v[96:97], v[102:103]
	;; [unrolled: 1-line block ×10, first 2 shown]
	v_mul_f64_e32 v[126:127], s[26:27], v[110:111]
	v_mul_f64_e32 v[128:129], s[22:23], v[110:111]
	;; [unrolled: 1-line block ×5, first 2 shown]
	v_fma_f64 v[26:27], v[217:218], s[10:11], -v[24:25]
	v_fma_f64 v[181:182], v[134:135], s[18:19], -v[126:127]
	v_fma_f64 v[136:137], v[134:135], s[14:15], v[128:129]
	v_fma_f64 v[128:129], v[134:135], s[14:15], -v[128:129]
	v_fma_f64 v[138:139], v[134:135], s[16:17], v[130:131]
	;; [unrolled: 2-line block ×5, first 2 shown]
	v_add_f64_e32 v[112:113], v[98:99], v[181:182]
	v_add_f64_e32 v[118:119], v[98:99], v[136:137]
	;; [unrolled: 1-line block ×11, first 2 shown]
	v_add_f64_e64 v[126:127], v[146:147], -v[148:149]
	v_add_f64_e64 v[128:129], v[144:145], -v[150:151]
	;; [unrolled: 1-line block ×4, first 2 shown]
	s_delay_alu instid0(VALU_DEP_4) | instskip(NEXT) | instid1(VALU_DEP_4)
	v_mul_f64_e32 v[189:190], s[22:23], v[126:127]
	v_mul_f64_e32 v[193:194], s[22:23], v[128:129]
	s_delay_alu instid0(VALU_DEP_4) | instskip(NEXT) | instid1(VALU_DEP_4)
	v_mul_f64_e32 v[197:198], s[20:21], v[130:131]
	v_mul_f64_e32 v[201:202], s[20:21], v[132:133]
	;; [unrolled: 1-line block ×8, first 2 shown]
	s_mov_b32 s23, 0x3fed1bb4
	v_mul_f64_e32 v[0:1], s[26:27], v[130:131]
	s_wait_alu 0xfffe
	v_mul_f64_e32 v[248:249], s[22:23], v[130:131]
	v_mul_f64_e32 v[250:251], s[22:23], v[132:133]
	;; [unrolled: 1-line block ×6, first 2 shown]
	v_fma_f64 v[100:101], v[181:182], s[14:15], v[189:190]
	v_fma_f64 v[2:3], v[195:196], s[18:19], -v[0:1]
	v_fma_f64 v[0:1], v[195:196], s[18:19], v[0:1]
	v_fma_f64 v[6:7], v[199:200], s[18:19], v[4:5]
	v_fma_f64 v[14:15], v[217:218], s[14:15], -v[12:13]
	v_fma_f64 v[4:5], v[199:200], s[18:19], -v[4:5]
	v_add_f64_e32 v[100:101], v[100:101], v[102:103]
	v_fma_f64 v[102:103], v[191:192], s[14:15], -v[193:194]
	s_delay_alu instid0(VALU_DEP_1) | instskip(SKIP_1) | instid1(VALU_DEP_1)
	v_add_f64_e32 v[102:103], v[102:103], v[112:113]
	v_fma_f64 v[112:113], v[195:196], s[16:17], v[197:198]
	v_add_f64_e32 v[100:101], v[112:113], v[100:101]
	v_fma_f64 v[112:113], v[199:200], s[16:17], -v[201:202]
	s_delay_alu instid0(VALU_DEP_1) | instskip(SKIP_1) | instid1(VALU_DEP_1)
	v_add_f64_e32 v[102:103], v[112:113], v[102:103]
	v_fma_f64 v[112:113], v[205:206], s[10:11], v[207:208]
	;; [unrolled: 5-line block ×3, first 2 shown]
	v_add_f64_e32 v[100:101], v[112:113], v[100:101]
	v_fma_f64 v[112:113], v[223:224], s[2:3], -v[225:226]
	s_delay_alu instid0(VALU_DEP_1) | instskip(SKIP_1) | instid1(VALU_DEP_1)
	v_add_f64_e32 v[102:103], v[112:113], v[102:103]
	v_fma_f64 v[112:113], v[181:182], s[10:11], -v[227:228]
	v_add_f64_e32 v[112:113], v[112:113], v[114:115]
	v_fma_f64 v[114:115], v[191:192], s[10:11], v[229:230]
	s_delay_alu instid0(VALU_DEP_1) | instskip(SKIP_1) | instid1(VALU_DEP_1)
	v_add_f64_e32 v[114:115], v[114:115], v[118:119]
	v_fma_f64 v[118:119], v[195:196], s[2:3], -v[231:232]
	v_add_f64_e32 v[112:113], v[118:119], v[112:113]
	v_fma_f64 v[118:119], v[199:200], s[2:3], v[233:234]
	;; [unrolled: 5-line block ×6, first 2 shown]
	s_delay_alu instid0(VALU_DEP_1) | instskip(SKIP_1) | instid1(VALU_DEP_2)
	v_add_f64_e32 v[118:119], v[120:121], v[118:119]
	v_fma_f64 v[120:121], v[205:206], s[18:19], -v[252:253]
	v_add_f64_e32 v[22:23], v[22:23], v[118:119]
	s_delay_alu instid0(VALU_DEP_2) | instskip(NEXT) | instid1(VALU_DEP_1)
	v_add_f64_e32 v[116:117], v[120:121], v[116:117]
	v_add_f64_e32 v[116:117], v[26:27], v[116:117]
	v_mul_f64_e32 v[26:27], s[24:25], v[221:222]
	s_delay_alu instid0(VALU_DEP_1) | instskip(NEXT) | instid1(VALU_DEP_1)
	v_fma_f64 v[118:119], v[223:224], s[10:11], v[26:27]
	v_add_f64_e32 v[118:119], v[118:119], v[22:23]
	v_mul_f64_e32 v[22:23], s[34:35], v[126:127]
	s_delay_alu instid0(VALU_DEP_1) | instskip(NEXT) | instid1(VALU_DEP_1)
	v_fma_f64 v[120:121], v[181:182], s[16:17], -v[22:23]
	v_add_f64_e32 v[120:121], v[120:121], v[122:123]
	v_fma_f64 v[122:123], v[191:192], s[16:17], v[254:255]
	s_delay_alu instid0(VALU_DEP_2) | instskip(NEXT) | instid1(VALU_DEP_2)
	v_add_f64_e32 v[2:3], v[2:3], v[120:121]
	v_add_f64_e32 v[122:123], v[122:123], v[134:135]
	v_mul_f64_e32 v[134:135], s[24:25], v[130:131]
	s_delay_alu instid0(VALU_DEP_3) | instskip(SKIP_1) | instid1(VALU_DEP_4)
	v_add_f64_e32 v[2:3], v[10:11], v[2:3]
	v_mul_f64_e32 v[10:11], s[28:29], v[209:210]
	v_add_f64_e32 v[6:7], v[6:7], v[122:123]
	s_delay_alu instid0(VALU_DEP_2) | instskip(NEXT) | instid1(VALU_DEP_1)
	v_fma_f64 v[120:121], v[211:212], s[2:3], v[10:11]
	v_add_f64_e32 v[6:7], v[120:121], v[6:7]
	v_add_f64_e32 v[120:121], v[14:15], v[2:3]
	v_mul_f64_e32 v[2:3], s[22:23], v[221:222]
	s_delay_alu instid0(VALU_DEP_1) | instskip(SKIP_1) | instid1(VALU_DEP_2)
	v_fma_f64 v[14:15], v[223:224], s[14:15], v[2:3]
	v_fma_f64 v[2:3], v[223:224], s[14:15], -v[2:3]
	v_add_f64_e32 v[122:123], v[14:15], v[6:7]
	v_mul_f64_e32 v[6:7], s[36:37], v[126:127]
	s_delay_alu instid0(VALU_DEP_1) | instskip(SKIP_1) | instid1(VALU_DEP_2)
	v_fma_f64 v[14:15], v[181:182], s[18:19], -v[6:7]
	v_fma_f64 v[6:7], v[181:182], s[18:19], v[6:7]
	v_add_f64_e32 v[14:15], v[14:15], v[124:125]
	v_mul_f64_e32 v[124:125], s[36:37], v[128:129]
	v_fma_f64 v[128:129], v[195:196], s[10:11], -v[134:135]
	s_delay_alu instid0(VALU_DEP_4) | instskip(SKIP_1) | instid1(VALU_DEP_4)
	v_add_f64_e32 v[6:7], v[6:7], v[96:97]
	v_fma_f64 v[96:97], v[195:196], s[10:11], v[134:135]
	v_fma_f64 v[126:127], v[191:192], s[18:19], v[124:125]
	s_delay_alu instid0(VALU_DEP_4) | instskip(SKIP_1) | instid1(VALU_DEP_4)
	v_add_f64_e32 v[14:15], v[128:129], v[14:15]
	v_fma_f64 v[128:129], v[199:200], s[10:11], v[132:133]
	v_add_f64_e32 v[6:7], v[96:97], v[6:7]
	v_fma_f64 v[96:97], v[199:200], s[10:11], -v[132:133]
	v_add_f64_e32 v[126:127], v[126:127], v[136:137]
	v_mul_f64_e32 v[136:137], s[22:23], v[203:204]
	v_mul_f64_e32 v[203:204], s[22:23], v[209:210]
	;; [unrolled: 1-line block ×4, first 2 shown]
	v_add_f64_e32 v[126:127], v[128:129], v[126:127]
	v_fma_f64 v[128:129], v[205:206], s[14:15], -v[136:137]
	s_delay_alu instid0(VALU_DEP_1) | instskip(SKIP_1) | instid1(VALU_DEP_1)
	v_add_f64_e32 v[14:15], v[128:129], v[14:15]
	v_fma_f64 v[128:129], v[211:212], s[14:15], v[203:204]
	v_add_f64_e32 v[126:127], v[128:129], v[126:127]
	v_fma_f64 v[128:129], v[217:218], s[16:17], -v[209:210]
	s_delay_alu instid0(VALU_DEP_1) | instskip(SKIP_1) | instid1(VALU_DEP_1)
	v_add_f64_e32 v[128:129], v[128:129], v[14:15]
	v_fma_f64 v[14:15], v[223:224], s[16:17], v[215:216]
	v_add_f64_e32 v[130:131], v[14:15], v[126:127]
	v_fma_f64 v[14:15], v[191:192], s[18:19], -v[124:125]
	s_delay_alu instid0(VALU_DEP_1) | instskip(SKIP_1) | instid1(VALU_DEP_2)
	v_add_f64_e32 v[14:15], v[14:15], v[110:111]
	v_fma_f64 v[110:111], v[223:224], s[16:17], -v[215:216]
	v_add_f64_e32 v[14:15], v[96:97], v[14:15]
	v_fma_f64 v[96:97], v[205:206], s[14:15], v[136:137]
	s_delay_alu instid0(VALU_DEP_1) | instskip(SKIP_1) | instid1(VALU_DEP_1)
	v_add_f64_e32 v[6:7], v[96:97], v[6:7]
	v_fma_f64 v[96:97], v[211:212], s[14:15], -v[203:204]
	v_add_f64_e32 v[14:15], v[96:97], v[14:15]
	v_fma_f64 v[96:97], v[217:218], s[16:17], v[209:210]
	s_delay_alu instid0(VALU_DEP_2) | instskip(NEXT) | instid1(VALU_DEP_2)
	v_add_f64_e32 v[134:135], v[110:111], v[14:15]
	v_add_f64_e32 v[132:133], v[96:97], v[6:7]
	v_fma_f64 v[6:7], v[181:182], s[16:17], v[22:23]
	v_fma_f64 v[14:15], v[191:192], s[16:17], -v[254:255]
	s_delay_alu instid0(VALU_DEP_2) | instskip(NEXT) | instid1(VALU_DEP_2)
	v_add_f64_e32 v[6:7], v[6:7], v[108:109]
	v_add_f64_e32 v[14:15], v[14:15], v[138:139]
	s_delay_alu instid0(VALU_DEP_2) | instskip(SKIP_1) | instid1(VALU_DEP_3)
	v_add_f64_e32 v[0:1], v[0:1], v[6:7]
	v_fma_f64 v[6:7], v[205:206], s[2:3], v[8:9]
	v_add_f64_e32 v[4:5], v[4:5], v[14:15]
	v_fma_f64 v[8:9], v[205:206], s[10:11], -v[207:208]
	s_delay_alu instid0(VALU_DEP_3) | instskip(SKIP_2) | instid1(VALU_DEP_2)
	v_add_f64_e32 v[0:1], v[6:7], v[0:1]
	v_fma_f64 v[6:7], v[211:212], s[2:3], -v[10:11]
	v_fma_f64 v[10:11], v[211:212], s[10:11], v[213:214]
	v_add_f64_e32 v[4:5], v[6:7], v[4:5]
	v_fma_f64 v[6:7], v[217:218], s[14:15], v[12:13]
	s_delay_alu instid0(VALU_DEP_2) | instskip(NEXT) | instid1(VALU_DEP_2)
	v_add_f64_e32 v[126:127], v[2:3], v[4:5]
	v_add_f64_e32 v[124:125], v[6:7], v[0:1]
	v_fma_f64 v[0:1], v[181:182], s[2:3], v[244:245]
	v_fma_f64 v[2:3], v[191:192], s[2:3], -v[246:247]
	v_fma_f64 v[4:5], v[195:196], s[14:15], v[248:249]
	v_fma_f64 v[6:7], v[223:224], s[10:11], -v[26:27]
	s_delay_alu instid0(VALU_DEP_4) | instskip(NEXT) | instid1(VALU_DEP_4)
	v_add_f64_e32 v[0:1], v[0:1], v[106:107]
	v_add_f64_e32 v[2:3], v[2:3], v[177:178]
	s_delay_alu instid0(VALU_DEP_2) | instskip(SKIP_1) | instid1(VALU_DEP_1)
	v_add_f64_e32 v[0:1], v[4:5], v[0:1]
	v_fma_f64 v[4:5], v[199:200], s[14:15], -v[250:251]
	v_add_f64_e32 v[2:3], v[4:5], v[2:3]
	v_fma_f64 v[4:5], v[205:206], s[18:19], v[252:253]
	s_delay_alu instid0(VALU_DEP_1) | instskip(SKIP_1) | instid1(VALU_DEP_1)
	v_add_f64_e32 v[0:1], v[4:5], v[0:1]
	v_fma_f64 v[4:5], v[211:212], s[18:19], -v[20:21]
	v_add_f64_e32 v[2:3], v[4:5], v[2:3]
	v_fma_f64 v[4:5], v[217:218], s[10:11], v[24:25]
	s_delay_alu instid0(VALU_DEP_2) | instskip(NEXT) | instid1(VALU_DEP_2)
	v_add_f64_e32 v[110:111], v[6:7], v[2:3]
	v_add_f64_e32 v[108:109], v[4:5], v[0:1]
	v_fma_f64 v[0:1], v[181:182], s[10:11], v[227:228]
	v_fma_f64 v[2:3], v[191:192], s[10:11], -v[229:230]
	v_fma_f64 v[4:5], v[195:196], s[2:3], v[231:232]
	v_fma_f64 v[6:7], v[223:224], s[18:19], -v[242:243]
	s_delay_alu instid0(VALU_DEP_4) | instskip(NEXT) | instid1(VALU_DEP_4)
	v_add_f64_e32 v[0:1], v[0:1], v[104:105]
	v_add_f64_e32 v[2:3], v[2:3], v[179:180]
	s_delay_alu instid0(VALU_DEP_2) | instskip(SKIP_1) | instid1(VALU_DEP_1)
	v_add_f64_e32 v[0:1], v[4:5], v[0:1]
	v_fma_f64 v[4:5], v[199:200], s[2:3], -v[233:234]
	v_add_f64_e32 v[2:3], v[4:5], v[2:3]
	v_fma_f64 v[4:5], v[205:206], s[16:17], v[235:236]
	s_delay_alu instid0(VALU_DEP_1) | instskip(SKIP_1) | instid1(VALU_DEP_1)
	v_add_f64_e32 v[0:1], v[4:5], v[0:1]
	v_fma_f64 v[4:5], v[211:212], s[16:17], -v[238:239]
	v_add_f64_e32 v[2:3], v[4:5], v[2:3]
	v_fma_f64 v[4:5], v[217:218], s[18:19], v[240:241]
	s_delay_alu instid0(VALU_DEP_2) | instskip(NEXT) | instid1(VALU_DEP_2)
	v_add_f64_e32 v[106:107], v[6:7], v[2:3]
	v_add_f64_e32 v[104:105], v[4:5], v[0:1]
	v_fma_f64 v[0:1], v[181:182], s[14:15], -v[189:190]
	v_fma_f64 v[4:5], v[195:196], s[16:17], -v[197:198]
	v_fma_f64 v[2:3], v[191:192], s[14:15], v[193:194]
	v_fma_f64 v[6:7], v[199:200], s[16:17], v[201:202]
	s_delay_alu instid0(VALU_DEP_4) | instskip(NEXT) | instid1(VALU_DEP_3)
	v_add_f64_e32 v[0:1], v[0:1], v[187:188]
	v_add_f64_e32 v[2:3], v[2:3], v[98:99]
	s_delay_alu instid0(VALU_DEP_2) | instskip(SKIP_1) | instid1(VALU_DEP_3)
	v_add_f64_e32 v[0:1], v[4:5], v[0:1]
	v_fma_f64 v[4:5], v[217:218], s[2:3], -v[219:220]
	v_add_f64_e32 v[2:3], v[6:7], v[2:3]
	v_fma_f64 v[6:7], v[223:224], s[2:3], v[225:226]
	s_delay_alu instid0(VALU_DEP_4) | instskip(NEXT) | instid1(VALU_DEP_3)
	v_add_f64_e32 v[0:1], v[8:9], v[0:1]
	v_add_f64_e32 v[2:3], v[10:11], v[2:3]
	s_delay_alu instid0(VALU_DEP_2) | instskip(SKIP_1) | instid1(VALU_DEP_3)
	v_add_f64_e32 v[136:137], v[4:5], v[0:1]
	v_add_f64_e32 v[0:1], v[183:184], v[144:145]
	;; [unrolled: 1-line block ×4, first 2 shown]
	s_delay_alu instid0(VALU_DEP_3) | instskip(NEXT) | instid1(VALU_DEP_2)
	v_add_f64_e32 v[0:1], v[0:1], v[152:153]
	v_add_f64_e32 v[2:3], v[2:3], v[154:155]
	s_delay_alu instid0(VALU_DEP_2) | instskip(NEXT) | instid1(VALU_DEP_2)
	v_add_f64_e32 v[0:1], v[0:1], v[161:162]
	v_add_f64_e32 v[2:3], v[2:3], v[163:164]
	s_delay_alu instid0(VALU_DEP_2) | instskip(NEXT) | instid1(VALU_DEP_2)
	;; [unrolled: 3-line block ×6, first 2 shown]
	v_add_f64_e32 v[0:1], v[0:1], v[150:151]
	v_add_f64_e32 v[2:3], v[2:3], v[148:149]
	s_delay_alu instid0(VALU_DEP_2)
	v_add_f64_e32 v[96:97], v[0:1], v[142:143]
	scratch_load_b32 v0, off, off           ; 4-byte Folded Reload
	v_add_f64_e32 v[98:99], v[2:3], v[140:141]
	s_wait_loadcnt 0x0
	v_lshl_add_u32 v238, v156, 4, v0
	ds_store_b128 v238, v[112:115] offset:1632
	ds_store_b128 v238, v[116:119] offset:2448
	;; [unrolled: 1-line block ×10, first 2 shown]
	ds_store_b128 v238, v[96:99]
	global_wb scope:SCOPE_SE
	s_wait_dscnt 0x0
	s_barrier_signal -1
	s_barrier_wait -1
	global_inv scope:SCOPE_SE
	s_and_saveexec_b32 s1, vcc_lo
	s_cbranch_execz .LBB0_13
; %bb.12:
	scratch_load_b32 v8, off, off offset:76 ; 4-byte Folded Reload
	s_add_nc_u64 s[2:3], s[8:9], 0x2310
	s_wait_loadcnt 0x0
	s_clause 0xa
	global_load_b128 v[140:143], v8, s[8:9] offset:8976
	global_load_b128 v[144:147], v8, s[2:3] offset:528
	;; [unrolled: 1-line block ×11, first 2 shown]
	ds_load_b128 v[185:188], v238
	ds_load_b128 v[189:192], v238 offset:528
	ds_load_b128 v[193:196], v238 offset:1056
	global_load_b128 v[197:200], v8, s[2:3] offset:5808
	s_wait_loadcnt_dscnt 0xa01
	v_mul_f64_e32 v[4:5], v[191:192], v[146:147]
	v_mul_f64_e32 v[6:7], v[189:190], v[146:147]
	;; [unrolled: 1-line block ×4, first 2 shown]
	s_delay_alu instid0(VALU_DEP_4) | instskip(NEXT) | instid1(VALU_DEP_4)
	v_fma_f64 v[189:190], v[189:190], v[144:145], -v[4:5]
	v_fma_f64 v[191:192], v[191:192], v[144:145], v[6:7]
	ds_load_b128 v[144:147], v238 offset:2112
	v_fma_f64 v[185:186], v[185:186], v[140:141], -v[0:1]
	v_fma_f64 v[187:188], v[187:188], v[140:141], v[2:3]
	ds_load_b128 v[140:143], v238 offset:1584
	s_wait_loadcnt_dscnt 0x902
	v_mul_f64_e32 v[0:1], v[195:196], v[150:151]
	v_mul_f64_e32 v[2:3], v[193:194], v[150:151]
	s_wait_loadcnt_dscnt 0x800
	v_mul_f64_e32 v[4:5], v[142:143], v[154:155]
	v_mul_f64_e32 v[6:7], v[140:141], v[154:155]
	s_delay_alu instid0(VALU_DEP_4) | instskip(NEXT) | instid1(VALU_DEP_4)
	v_fma_f64 v[193:194], v[193:194], v[148:149], -v[0:1]
	v_fma_f64 v[195:196], v[195:196], v[148:149], v[2:3]
	ds_load_b128 v[148:151], v238 offset:2640
	s_wait_loadcnt 0x7
	v_mul_f64_e32 v[0:1], v[146:147], v[159:160]
	v_mul_f64_e32 v[2:3], v[144:145], v[159:160]
	v_fma_f64 v[140:141], v[140:141], v[152:153], -v[4:5]
	v_fma_f64 v[142:143], v[142:143], v[152:153], v[6:7]
	ds_load_b128 v[152:155], v238 offset:3168
	s_wait_loadcnt_dscnt 0x601
	v_mul_f64_e32 v[4:5], v[150:151], v[163:164]
	v_mul_f64_e32 v[6:7], v[148:149], v[163:164]
	v_fma_f64 v[144:145], v[144:145], v[157:158], -v[0:1]
	v_fma_f64 v[146:147], v[146:147], v[157:158], v[2:3]
	ds_load_b128 v[157:160], v238 offset:3696
	s_wait_loadcnt_dscnt 0x501
	v_mul_f64_e32 v[0:1], v[154:155], v[167:168]
	v_mul_f64_e32 v[2:3], v[152:153], v[167:168]
	v_fma_f64 v[148:149], v[148:149], v[161:162], -v[4:5]
	v_fma_f64 v[150:151], v[150:151], v[161:162], v[6:7]
	ds_load_b128 v[161:164], v238 offset:4224
	s_wait_loadcnt_dscnt 0x401
	v_mul_f64_e32 v[4:5], v[159:160], v[171:172]
	v_mul_f64_e32 v[6:7], v[157:158], v[171:172]
	v_fma_f64 v[152:153], v[152:153], v[165:166], -v[0:1]
	v_fma_f64 v[154:155], v[154:155], v[165:166], v[2:3]
	ds_load_b128 v[165:168], v238 offset:4752
	s_wait_loadcnt_dscnt 0x301
	v_mul_f64_e32 v[0:1], v[163:164], v[175:176]
	v_mul_f64_e32 v[2:3], v[161:162], v[175:176]
	v_fma_f64 v[157:158], v[157:158], v[169:170], -v[4:5]
	v_fma_f64 v[159:160], v[159:160], v[169:170], v[6:7]
	s_wait_loadcnt_dscnt 0x200
	v_mul_f64_e32 v[4:5], v[167:168], v[179:180]
	v_mul_f64_e32 v[6:7], v[165:166], v[179:180]
	v_fma_f64 v[161:162], v[161:162], v[173:174], -v[0:1]
	v_fma_f64 v[163:164], v[163:164], v[173:174], v[2:3]
	ds_load_b128 v[169:172], v238 offset:5280
	ds_load_b128 v[173:176], v238 offset:5808
	v_fma_f64 v[165:166], v[165:166], v[177:178], -v[4:5]
	v_fma_f64 v[167:168], v[167:168], v[177:178], v[6:7]
	s_wait_loadcnt_dscnt 0x101
	v_mul_f64_e32 v[0:1], v[171:172], v[183:184]
	global_load_b128 v[177:180], v8, s[2:3] offset:6336
	v_mul_f64_e32 v[2:3], v[169:170], v[183:184]
	v_fma_f64 v[169:170], v[169:170], v[181:182], -v[0:1]
	s_wait_loadcnt_dscnt 0x100
	v_mul_f64_e32 v[0:1], v[175:176], v[199:200]
	s_delay_alu instid0(VALU_DEP_3) | instskip(SKIP_3) | instid1(VALU_DEP_2)
	v_fma_f64 v[171:172], v[171:172], v[181:182], v[2:3]
	global_load_b128 v[181:184], v8, s[2:3] offset:6864
	v_mul_f64_e32 v[2:3], v[173:174], v[199:200]
	v_fma_f64 v[173:174], v[173:174], v[197:198], -v[0:1]
	v_fma_f64 v[175:176], v[175:176], v[197:198], v[2:3]
	ds_load_b128 v[197:200], v238 offset:6336
	ds_load_b128 v[201:204], v238 offset:6864
	s_wait_loadcnt_dscnt 0x101
	v_mul_f64_e32 v[0:1], v[199:200], v[179:180]
	v_mul_f64_e32 v[2:3], v[197:198], v[179:180]
	s_delay_alu instid0(VALU_DEP_2) | instskip(NEXT) | instid1(VALU_DEP_2)
	v_fma_f64 v[197:198], v[197:198], v[177:178], -v[0:1]
	v_fma_f64 v[199:200], v[199:200], v[177:178], v[2:3]
	s_wait_loadcnt_dscnt 0x0
	v_mul_f64_e32 v[0:1], v[203:204], v[183:184]
	v_mul_f64_e32 v[2:3], v[201:202], v[183:184]
	s_delay_alu instid0(VALU_DEP_2) | instskip(NEXT) | instid1(VALU_DEP_2)
	v_fma_f64 v[177:178], v[201:202], v[181:182], -v[0:1]
	v_fma_f64 v[179:180], v[203:204], v[181:182], v[2:3]
	s_clause 0x1
	global_load_b128 v[181:184], v8, s[2:3] offset:7392
	global_load_b128 v[201:204], v8, s[2:3] offset:7920
	ds_load_b128 v[205:208], v238 offset:7392
	ds_load_b128 v[209:212], v238 offset:7920
	s_wait_loadcnt_dscnt 0x101
	v_mul_f64_e32 v[0:1], v[207:208], v[183:184]
	v_mul_f64_e32 v[2:3], v[205:206], v[183:184]
	s_delay_alu instid0(VALU_DEP_2) | instskip(NEXT) | instid1(VALU_DEP_2)
	v_fma_f64 v[205:206], v[205:206], v[181:182], -v[0:1]
	v_fma_f64 v[207:208], v[207:208], v[181:182], v[2:3]
	s_wait_loadcnt_dscnt 0x0
	v_mul_f64_e32 v[0:1], v[211:212], v[203:204]
	v_mul_f64_e32 v[2:3], v[209:210], v[203:204]
	s_delay_alu instid0(VALU_DEP_2) | instskip(NEXT) | instid1(VALU_DEP_2)
	v_fma_f64 v[181:182], v[209:210], v[201:202], -v[0:1]
	v_fma_f64 v[183:184], v[211:212], v[201:202], v[2:3]
	global_load_b128 v[201:204], v8, s[2:3] offset:8448
	ds_load_b128 v[209:212], v238 offset:8448
	s_wait_loadcnt_dscnt 0x0
	v_mul_f64_e32 v[0:1], v[211:212], v[203:204]
	v_mul_f64_e32 v[2:3], v[209:210], v[203:204]
	s_delay_alu instid0(VALU_DEP_2) | instskip(NEXT) | instid1(VALU_DEP_2)
	v_fma_f64 v[209:210], v[209:210], v[201:202], -v[0:1]
	v_fma_f64 v[211:212], v[211:212], v[201:202], v[2:3]
	ds_store_b128 v238, v[185:188]
	ds_store_b128 v238, v[189:192] offset:528
	ds_store_b128 v238, v[193:196] offset:1056
	;; [unrolled: 1-line block ×16, first 2 shown]
.LBB0_13:
	s_wait_alu 0xfffe
	s_or_b32 exec_lo, exec_lo, s1
	global_wb scope:SCOPE_SE
	s_wait_dscnt 0x0
	s_barrier_signal -1
	s_barrier_wait -1
	global_inv scope:SCOPE_SE
	s_and_saveexec_b32 s1, vcc_lo
	s_cbranch_execz .LBB0_15
; %bb.14:
	ds_load_b128 v[96:99], v238
	ds_load_b128 v[136:139], v238 offset:528
	ds_load_b128 v[112:115], v238 offset:1056
	;; [unrolled: 1-line block ×13, first 2 shown]
	s_wait_dscnt 0x0
	scratch_store_b128 off, v[0:3], off offset:52 ; 16-byte Folded Spill
	ds_load_b128 v[0:3], v238 offset:7392
	s_wait_dscnt 0x0
	scratch_store_b128 off, v[0:3], off offset:36 ; 16-byte Folded Spill
	ds_load_b128 v[0:3], v238 offset:7920
	;; [unrolled: 3-line block ×3, first 2 shown]
	s_wait_dscnt 0x0
	scratch_store_b128 off, v[0:3], off offset:4 ; 16-byte Folded Spill
.LBB0_15:
	s_wait_alu 0xfffe
	s_or_b32 exec_lo, exec_lo, s1
	s_clause 0x3
	scratch_load_b128 v[6:9], off, off offset:4
	scratch_load_b128 v[10:13], off, off offset:20
	;; [unrolled: 1-line block ×4, first 2 shown]
	s_mov_b32 s14, 0x6c9a05f6
	s_mov_b32 s15, 0xbfe9895b
	;; [unrolled: 1-line block ×11, first 2 shown]
	s_wait_alu 0xfffe
	s_mov_b32 s22, s28
	s_mov_b32 s18, 0x370991
	;; [unrolled: 1-line block ×7, first 2 shown]
	v_add_f64_e64 v[183:184], v[130:131], -v[18:19]
	s_mov_b32 s30, 0xeb564b22
	s_mov_b32 s31, 0xbfefdd0d
	;; [unrolled: 1-line block ×3, first 2 shown]
	s_wait_alu 0xfffe
	s_mov_b32 s50, s30
	v_add_f64_e32 v[171:172], v[128:129], v[16:17]
	s_mov_b32 s26, 0x3259b75e
	s_mov_b32 s27, 0x3fb79ee6
	v_add_f64_e32 v[177:178], v[130:131], v[18:19]
	v_add_f64_e64 v[193:194], v[128:129], -v[16:17]
	v_add_f64_e64 v[195:196], v[134:135], -v[94:95]
	s_mov_b32 s38, 0x2a9d6da3
	s_mov_b32 s39, 0x3fe58eea
	;; [unrolled: 1-line block ×3, first 2 shown]
	s_wait_alu 0xfffe
	s_mov_b32 s44, s38
	v_add_f64_e32 v[179:180], v[132:133], v[92:93]
	s_mov_b32 s34, 0x75d4884
	s_mov_b32 s35, 0x3fe7a5f6
	v_add_f64_e32 v[185:186], v[134:135], v[94:95]
	v_add_f64_e64 v[201:202], v[132:133], -v[92:93]
	v_add_f64_e64 v[199:200], v[126:127], -v[102:103]
	s_mov_b32 s42, 0xacd6c6b4
	s_mov_b32 s43, 0xbfc7851a
	v_add_f64_e32 v[187:188], v[124:125], v[100:101]
	s_mov_b32 s36, 0x7faef3
	s_mov_b32 s37, 0xbfef7484
	v_add_f64_e32 v[189:190], v[126:127], v[102:103]
	v_add_f64_e64 v[203:204], v[124:125], -v[100:101]
	v_add_f64_e64 v[205:206], v[110:111], -v[106:107]
	s_mov_b32 s46, 0x7c9e640b
	s_mov_b32 s47, 0x3feca52d
	v_add_f64_e32 v[191:192], v[108:109], v[104:105]
	s_mov_b32 s40, 0x2b2883cd
	s_mov_b32 s41, 0x3fdc86fa
	v_add_f64_e32 v[197:198], v[110:111], v[106:107]
	v_add_f64_e64 v[207:208], v[108:109], -v[104:105]
	s_mov_b32 s53, 0x3fe9895b
	s_mov_b32 s52, s14
	;; [unrolled: 1-line block ×4, first 2 shown]
	v_mul_f64_e32 v[247:248], s[14:15], v[183:184]
	v_mul_f64_e32 v[221:222], s[2:3], v[177:178]
	s_wait_alu 0xfffe
	v_mul_f64_e32 v[249:250], s[46:47], v[195:196]
	v_mul_f64_e32 v[223:224], s[40:41], v[185:186]
	;; [unrolled: 1-line block ×6, first 2 shown]
	s_wait_loadcnt 0x3
	v_add_f64_e64 v[213:214], v[138:139], -v[8:9]
	v_add_f64_e32 v[209:210], v[136:137], v[6:7]
	s_wait_loadcnt 0x2
	v_add_f64_e64 v[157:158], v[114:115], -v[12:13]
	v_add_f64_e32 v[154:155], v[114:115], v[12:13]
	v_add_f64_e32 v[152:153], v[112:113], v[10:11]
	;; [unrolled: 1-line block ×3, first 2 shown]
	v_add_f64_e64 v[231:232], v[136:137], -v[6:7]
	v_add_f64_e64 v[167:168], v[112:113], -v[10:11]
	s_wait_loadcnt 0x1
	v_add_f64_e64 v[165:166], v[118:119], -v[22:23]
	v_add_f64_e32 v[159:160], v[116:117], v[20:21]
	v_add_f64_e32 v[161:162], v[118:119], v[22:23]
	v_add_f64_e64 v[175:176], v[116:117], -v[20:21]
	s_wait_loadcnt 0x0
	v_add_f64_e64 v[173:174], v[122:123], -v[26:27]
	v_add_f64_e32 v[163:164], v[120:121], v[24:25]
	v_add_f64_e32 v[169:170], v[122:123], v[26:27]
	v_add_f64_e64 v[181:182], v[120:121], -v[24:25]
	v_mul_f64_e32 v[0:1], s[14:15], v[213:214]
	v_mul_f64_e32 v[215:216], s[24:25], v[213:214]
	;; [unrolled: 1-line block ×13, first 2 shown]
	scratch_store_b64 off, v[0:1], off offset:156 ; 8-byte Folded Spill
	v_fma_f64 v[0:1], v[209:210], s[2:3], -v[0:1]
	v_fma_f64 v[2:3], v[152:153], s[10:11], -v[14:15]
	scratch_store_b64 off, v[4:5], off offset:164 ; 8-byte Folded Spill
	v_fma_f64 v[4:5], v[167:168], s[16:17], v[4:5]
	v_add_f64_e32 v[0:1], v[96:97], v[0:1]
	s_delay_alu instid0(VALU_DEP_1) | instskip(SKIP_3) | instid1(VALU_DEP_1)
	v_add_f64_e32 v[0:1], v[2:3], v[0:1]
	v_mul_f64_e32 v[2:3], s[2:3], v[229:230]
	scratch_store_b64 off, v[2:3], off offset:212 ; 8-byte Folded Spill
	v_fma_f64 v[2:3], v[231:232], s[14:15], v[2:3]
	v_add_f64_e32 v[2:3], v[98:99], v[2:3]
	s_delay_alu instid0(VALU_DEP_1) | instskip(SKIP_3) | instid1(VALU_DEP_1)
	v_add_f64_e32 v[2:3], v[4:5], v[2:3]
	v_mul_f64_e32 v[4:5], s[22:23], v[165:166]
	scratch_store_b64 off, v[4:5], off offset:172 ; 8-byte Folded Spill
	v_fma_f64 v[4:5], v[159:160], s[18:19], -v[4:5]
	v_add_f64_e32 v[0:1], v[4:5], v[0:1]
	v_mul_f64_e32 v[4:5], s[18:19], v[161:162]
	scratch_store_b64 off, v[4:5], off offset:180 ; 8-byte Folded Spill
	v_fma_f64 v[4:5], v[175:176], s[22:23], v[4:5]
	s_delay_alu instid0(VALU_DEP_1) | instskip(SKIP_3) | instid1(VALU_DEP_1)
	v_add_f64_e32 v[2:3], v[4:5], v[2:3]
	v_mul_f64_e32 v[4:5], s[24:25], v[173:174]
	scratch_store_b64 off, v[4:5], off offset:188 ; 8-byte Folded Spill
	v_fma_f64 v[4:5], v[163:164], s[20:21], -v[4:5]
	v_add_f64_e32 v[0:1], v[4:5], v[0:1]
	v_mul_f64_e32 v[4:5], s[20:21], v[169:170]
	scratch_store_b64 off, v[4:5], off offset:196 ; 8-byte Folded Spill
	v_fma_f64 v[4:5], v[181:182], s[24:25], v[4:5]
	;; [unrolled: 9-line block ×5, first 2 shown]
	s_delay_alu instid0(VALU_DEP_1) | instskip(SKIP_3) | instid1(VALU_DEP_1)
	v_add_f64_e32 v[2:3], v[4:5], v[2:3]
	v_mul_f64_e32 v[4:5], s[46:47], v[205:206]
	scratch_store_b64 off, v[4:5], off offset:260 ; 8-byte Folded Spill
	v_fma_f64 v[4:5], v[191:192], s[40:41], -v[4:5]
	v_add_f64_e32 v[140:141], v[4:5], v[0:1]
	v_mul_f64_e32 v[0:1], s[40:41], v[197:198]
	v_mul_f64_e32 v[4:5], s[40:41], v[154:155]
	s_clause 0x1
	scratch_store_b64 off, v[0:1], off offset:268
	scratch_store_b64 off, v[4:5], off offset:316
	v_fma_f64 v[0:1], v[207:208], s[46:47], v[0:1]
	v_fma_f64 v[4:5], v[167:168], s[46:47], v[4:5]
	s_delay_alu instid0(VALU_DEP_2) | instskip(SKIP_2) | instid1(VALU_DEP_2)
	v_add_f64_e32 v[142:143], v[0:1], v[2:3]
	v_fma_f64 v[0:1], v[209:210], s[20:21], -v[215:216]
	v_mul_f64_e32 v[2:3], s[46:47], v[157:158]
	v_add_f64_e32 v[0:1], v[96:97], v[0:1]
	scratch_store_b64 off, v[2:3], off offset:276 ; 8-byte Folded Spill
	v_fma_f64 v[2:3], v[152:153], s[40:41], -v[2:3]
	s_delay_alu instid0(VALU_DEP_1) | instskip(SKIP_1) | instid1(VALU_DEP_1)
	v_add_f64_e32 v[0:1], v[2:3], v[0:1]
	v_fma_f64 v[2:3], v[231:232], s[24:25], v[219:220]
	v_add_f64_e32 v[2:3], v[98:99], v[2:3]
	s_delay_alu instid0(VALU_DEP_1) | instskip(SKIP_3) | instid1(VALU_DEP_1)
	v_add_f64_e32 v[2:3], v[4:5], v[2:3]
	v_mul_f64_e32 v[4:5], s[30:31], v[165:166]
	scratch_store_b64 off, v[4:5], off offset:300 ; 8-byte Folded Spill
	v_fma_f64 v[4:5], v[159:160], s[26:27], -v[4:5]
	v_add_f64_e32 v[0:1], v[4:5], v[0:1]
	v_mul_f64_e32 v[4:5], s[26:27], v[161:162]
	scratch_store_b64 off, v[4:5], off offset:348 ; 8-byte Folded Spill
	v_fma_f64 v[4:5], v[175:176], s[30:31], v[4:5]
	s_delay_alu instid0(VALU_DEP_1) | instskip(SKIP_3) | instid1(VALU_DEP_1)
	v_add_f64_e32 v[2:3], v[4:5], v[2:3]
	v_mul_f64_e32 v[4:5], s[52:53], v[173:174]
	scratch_store_b64 off, v[4:5], off offset:332 ; 8-byte Folded Spill
	v_fma_f64 v[4:5], v[163:164], s[2:3], -v[4:5]
	v_add_f64_e32 v[0:1], v[4:5], v[0:1]
	v_mul_f64_e32 v[4:5], s[2:3], v[169:170]
	scratch_store_b64 off, v[4:5], off offset:356 ; 8-byte Folded Spill
	v_fma_f64 v[4:5], v[181:182], s[52:53], v[4:5]
	;; [unrolled: 9-line block ×5, first 2 shown]
	s_delay_alu instid0(VALU_DEP_1) | instskip(SKIP_3) | instid1(VALU_DEP_1)
	v_add_f64_e32 v[2:3], v[4:5], v[2:3]
	v_mul_f64_e32 v[4:5], s[48:49], v[205:206]
	scratch_store_b64 off, v[4:5], off offset:340 ; 8-byte Folded Spill
	v_fma_f64 v[4:5], v[191:192], s[10:11], -v[4:5]
	v_add_f64_e32 v[144:145], v[4:5], v[0:1]
	v_mul_f64_e32 v[0:1], s[10:11], v[197:198]
	v_fma_f64 v[4:5], v[167:168], s[28:29], v[243:244]
	scratch_store_b64 off, v[0:1], off offset:380 ; 8-byte Folded Spill
	v_fma_f64 v[0:1], v[207:208], s[48:49], v[0:1]
	global_wb scope:SCOPE_SE
	s_wait_storecnt 0x0
	s_barrier_signal -1
	s_barrier_wait -1
	global_inv scope:SCOPE_SE
	v_add_f64_e32 v[146:147], v[0:1], v[2:3]
	v_fma_f64 v[0:1], v[209:210], s[36:37], -v[233:234]
	v_fma_f64 v[2:3], v[152:153], s[18:19], -v[239:240]
	s_delay_alu instid0(VALU_DEP_2) | instskip(NEXT) | instid1(VALU_DEP_1)
	v_add_f64_e32 v[0:1], v[96:97], v[0:1]
	v_add_f64_e32 v[0:1], v[2:3], v[0:1]
	v_fma_f64 v[2:3], v[231:232], s[42:43], v[235:236]
	s_delay_alu instid0(VALU_DEP_1) | instskip(NEXT) | instid1(VALU_DEP_1)
	v_add_f64_e32 v[2:3], v[98:99], v[2:3]
	v_add_f64_e32 v[2:3], v[4:5], v[2:3]
	v_fma_f64 v[4:5], v[159:160], s[20:21], -v[241:242]
	s_delay_alu instid0(VALU_DEP_1) | instskip(SKIP_1) | instid1(VALU_DEP_1)
	v_add_f64_e32 v[0:1], v[4:5], v[0:1]
	v_fma_f64 v[4:5], v[175:176], s[24:25], v[253:254]
	v_add_f64_e32 v[2:3], v[4:5], v[2:3]
	v_fma_f64 v[4:5], v[163:164], s[34:35], -v[245:246]
	s_delay_alu instid0(VALU_DEP_1) | instskip(SKIP_1) | instid1(VALU_DEP_1)
	v_add_f64_e32 v[0:1], v[4:5], v[0:1]
	v_fma_f64 v[4:5], v[181:182], s[38:39], v[217:218]
	;; [unrolled: 5-line block ×6, first 2 shown]
	v_add_f64_e32 v[150:151], v[0:1], v[2:3]
	s_and_saveexec_b32 s1, vcc_lo
	s_cbranch_execz .LBB0_17
; %bb.16:
	v_add_f64_e32 v[2:3], v[96:97], v[136:137]
	v_add_f64_e32 v[0:1], v[98:99], v[138:139]
	s_mov_b32 s55, 0xbfeca52d
	s_mov_b32 s54, s46
	s_mov_b32 s57, 0x3fe0d888
	s_mov_b32 s56, s24
	s_delay_alu instid0(VALU_DEP_2) | instskip(NEXT) | instid1(VALU_DEP_2)
	v_add_f64_e32 v[2:3], v[2:3], v[112:113]
	v_add_f64_e32 v[0:1], v[0:1], v[114:115]
	v_mul_f64_e32 v[112:113], s[54:55], v[213:214]
	s_delay_alu instid0(VALU_DEP_3) | instskip(NEXT) | instid1(VALU_DEP_3)
	v_add_f64_e32 v[2:3], v[2:3], v[116:117]
	v_add_f64_e32 v[0:1], v[0:1], v[118:119]
	s_delay_alu instid0(VALU_DEP_2) | instskip(NEXT) | instid1(VALU_DEP_2)
	v_add_f64_e32 v[2:3], v[2:3], v[120:121]
	v_add_f64_e32 v[0:1], v[0:1], v[122:123]
	v_fma_f64 v[122:123], v[209:210], s[40:41], -v[112:113]
	v_fma_f64 v[112:113], v[209:210], s[40:41], v[112:113]
	s_delay_alu instid0(VALU_DEP_4) | instskip(NEXT) | instid1(VALU_DEP_4)
	v_add_f64_e32 v[2:3], v[2:3], v[128:129]
	v_add_f64_e32 v[0:1], v[0:1], v[130:131]
	s_delay_alu instid0(VALU_DEP_4) | instskip(NEXT) | instid1(VALU_DEP_4)
	v_add_f64_e32 v[122:123], v[96:97], v[122:123]
	v_add_f64_e32 v[138:139], v[96:97], v[112:113]
	scratch_load_b64 v[112:113], off, off offset:364 th:TH_LOAD_LU ; 8-byte Folded Reload
	v_add_f64_e32 v[2:3], v[2:3], v[132:133]
	v_add_f64_e32 v[0:1], v[0:1], v[134:135]
	s_delay_alu instid0(VALU_DEP_2) | instskip(NEXT) | instid1(VALU_DEP_2)
	v_add_f64_e32 v[2:3], v[2:3], v[124:125]
	v_add_f64_e32 v[0:1], v[0:1], v[126:127]
	s_delay_alu instid0(VALU_DEP_2) | instskip(NEXT) | instid1(VALU_DEP_2)
	v_add_f64_e32 v[2:3], v[2:3], v[108:109]
	v_add_f64_e32 v[0:1], v[0:1], v[110:111]
	v_mul_f64_e32 v[110:111], s[22:23], v[213:214]
	v_mul_f64_e32 v[108:109], s[44:45], v[213:214]
	s_delay_alu instid0(VALU_DEP_4) | instskip(NEXT) | instid1(VALU_DEP_4)
	v_add_f64_e32 v[2:3], v[2:3], v[104:105]
	v_add_f64_e32 v[0:1], v[0:1], v[106:107]
	s_delay_alu instid0(VALU_DEP_4)
	v_fma_f64 v[120:121], v[209:210], s[18:19], v[110:111]
	v_fma_f64 v[110:111], v[209:210], s[18:19], -v[110:111]
	v_mul_f64_e32 v[104:105], s[48:49], v[213:214]
	v_mul_f64_e32 v[106:107], s[30:31], v[213:214]
	v_fma_f64 v[118:119], v[209:210], s[34:35], -v[108:109]
	v_fma_f64 v[108:109], v[209:210], s[34:35], v[108:109]
	v_add_f64_e32 v[2:3], v[2:3], v[100:101]
	v_add_f64_e32 v[0:1], v[0:1], v[102:103]
	;; [unrolled: 1-line block ×4, first 2 shown]
	v_mul_f64_e32 v[110:111], s[20:21], v[159:160]
	v_fma_f64 v[114:115], v[209:210], s[10:11], -v[104:105]
	v_fma_f64 v[104:105], v[209:210], s[10:11], v[104:105]
	v_fma_f64 v[116:117], v[209:210], s[26:27], -v[106:107]
	v_fma_f64 v[106:107], v[209:210], s[26:27], v[106:107]
	v_add_f64_e32 v[118:119], v[96:97], v[118:119]
	v_add_f64_e32 v[108:109], v[96:97], v[108:109]
	;; [unrolled: 1-line block ×10, first 2 shown]
	scratch_load_b64 v[16:17], off, off offset:212 th:TH_LOAD_LU ; 8-byte Folded Reload
	v_add_f64_e32 v[0:1], v[0:1], v[18:19]
	v_mul_f64_e32 v[18:19], s[30:31], v[231:232]
	v_add_f64_e32 v[2:3], v[2:3], v[24:25]
	v_mul_f64_e32 v[24:25], s[54:55], v[231:232]
	s_delay_alu instid0(VALU_DEP_4) | instskip(NEXT) | instid1(VALU_DEP_4)
	v_add_f64_e32 v[0:1], v[0:1], v[26:27]
	v_fma_f64 v[92:93], v[229:230], s[26:27], v[18:19]
	v_fma_f64 v[18:19], v[229:230], s[26:27], -v[18:19]
	v_add_f64_e32 v[2:3], v[2:3], v[20:21]
	v_fma_f64 v[102:103], v[229:230], s[40:41], v[24:25]
	v_add_f64_e32 v[0:1], v[0:1], v[22:23]
	v_mul_f64_e32 v[22:23], s[22:23], v[231:232]
	v_mul_f64_e32 v[20:21], s[44:45], v[231:232]
	v_fma_f64 v[24:25], v[229:230], s[40:41], -v[24:25]
	v_add_f64_e32 v[126:127], v[98:99], v[92:93]
	v_add_f64_e32 v[128:129], v[98:99], v[18:19]
	v_mul_f64_e32 v[92:93], s[46:47], v[201:202]
	v_mul_f64_e32 v[18:19], s[48:49], v[203:204]
	v_add_f64_e32 v[4:5], v[2:3], v[10:11]
	v_add_f64_e32 v[136:137], v[98:99], v[102:103]
	;; [unrolled: 1-line block ×3, first 2 shown]
	v_mul_f64_e32 v[12:13], s[14:15], v[231:232]
	v_fma_f64 v[100:101], v[229:230], s[18:19], v[22:23]
	v_mul_f64_e32 v[102:103], s[18:19], v[152:153]
	v_mul_f64_e32 v[10:11], s[20:21], v[209:210]
	v_fma_f64 v[94:95], v[229:230], s[34:35], v[20:21]
	v_fma_f64 v[20:21], v[229:230], s[34:35], -v[20:21]
	v_fma_f64 v[22:23], v[229:230], s[18:19], -v[22:23]
	v_add_f64_e32 v[24:25], v[98:99], v[24:25]
	v_add_f64_e64 v[92:93], v[223:224], -v[92:93]
	v_add_f64_e64 v[18:19], v[225:226], -v[18:19]
	v_add_f64_e32 v[2:3], v[0:1], v[8:9]
	v_add_f64_e32 v[0:1], v[4:5], v[6:7]
	v_mul_f64_e32 v[4:5], s[42:43], v[231:232]
	v_mul_f64_e32 v[6:7], s[36:37], v[209:210]
	v_add_f64_e32 v[132:133], v[98:99], v[100:101]
	v_mul_f64_e32 v[100:101], s[28:29], v[167:168]
	v_add_f64_e32 v[102:103], v[102:103], v[239:240]
	v_add_f64_e32 v[10:11], v[10:11], v[215:216]
	v_dual_mov_b32 v216, v15 :: v_dual_mov_b32 v215, v14
	v_mul_f64_e32 v[14:15], s[2:3], v[209:210]
	v_mul_f64_e32 v[8:9], s[24:25], v[231:232]
	v_add_f64_e32 v[130:131], v[98:99], v[94:95]
	v_add_f64_e32 v[20:21], v[98:99], v[20:21]
	v_add_f64_e32 v[22:23], v[98:99], v[22:23]
	v_mul_f64_e32 v[94:95], s[14:15], v[193:194]
	v_add_f64_e64 v[4:5], v[235:236], -v[4:5]
	v_add_f64_e32 v[6:7], v[6:7], v[233:234]
	v_add_f64_e64 v[100:101], v[243:244], -v[100:101]
	v_add_f64_e32 v[10:11], v[96:97], v[10:11]
	v_add_f64_e64 v[8:9], v[219:220], -v[8:9]
	v_mul_f64_e32 v[219:220], s[24:25], v[199:200]
	v_add_f64_e64 v[94:95], v[221:222], -v[94:95]
	v_mul_f64_e32 v[221:222], s[42:43], v[207:208]
	v_add_f64_e32 v[4:5], v[98:99], v[4:5]
	v_add_f64_e32 v[6:7], v[96:97], v[6:7]
	;; [unrolled: 1-line block ×3, first 2 shown]
	s_delay_alu instid0(VALU_DEP_3) | instskip(NEXT) | instid1(VALU_DEP_3)
	v_add_f64_e32 v[4:5], v[100:101], v[4:5]
	v_add_f64_e32 v[6:7], v[102:103], v[6:7]
	v_mul_f64_e32 v[100:101], s[34:35], v[163:164]
	scratch_load_b64 v[102:103], off, off offset:380 th:TH_LOAD_LU ; 8-byte Folded Reload
	v_add_f64_e32 v[6:7], v[110:111], v[6:7]
	v_add_f64_e32 v[100:101], v[100:101], v[245:246]
	scratch_load_b64 v[110:111], off, off offset:372 th:TH_LOAD_LU ; 8-byte Folded Reload
	s_wait_loadcnt 0x2
	v_add_f64_e64 v[12:13], v[16:17], -v[12:13]
	scratch_load_b64 v[16:17], off, off offset:156 th:TH_LOAD_LU ; 8-byte Folded Reload
	v_add_f64_e32 v[6:7], v[100:101], v[6:7]
	scratch_load_b64 v[100:101], off, off offset:332 th:TH_LOAD_LU ; 8-byte Folded Reload
	v_add_f64_e32 v[12:13], v[98:99], v[12:13]
	s_wait_loadcnt 0x1
	v_add_f64_e32 v[14:15], v[14:15], v[16:17]
	v_mul_f64_e32 v[16:17], s[48:49], v[231:232]
	s_delay_alu instid0(VALU_DEP_2) | instskip(NEXT) | instid1(VALU_DEP_2)
	v_add_f64_e32 v[14:15], v[96:97], v[14:15]
	v_fma_f64 v[26:27], v[229:230], s[10:11], v[16:17]
	v_fma_f64 v[16:17], v[229:230], s[10:11], -v[16:17]
	v_mul_f64_e32 v[96:97], s[38:39], v[181:182]
	s_delay_alu instid0(VALU_DEP_3) | instskip(NEXT) | instid1(VALU_DEP_3)
	v_add_f64_e32 v[26:27], v[98:99], v[26:27]
	v_add_f64_e32 v[124:125], v[98:99], v[16:17]
	v_mul_f64_e32 v[98:99], s[24:25], v[175:176]
	s_delay_alu instid0(VALU_DEP_4) | instskip(SKIP_2) | instid1(VALU_DEP_4)
	v_add_f64_e64 v[96:97], v[217:218], -v[96:97]
	v_mul_f64_e32 v[16:17], s[50:51], v[207:208]
	v_mul_f64_e32 v[217:218], s[14:15], v[205:206]
	v_add_f64_e64 v[98:99], v[253:254], -v[98:99]
	s_delay_alu instid0(VALU_DEP_3) | instskip(NEXT) | instid1(VALU_DEP_2)
	v_add_f64_e64 v[16:17], v[227:228], -v[16:17]
	v_add_f64_e32 v[4:5], v[98:99], v[4:5]
	v_mul_f64_e32 v[98:99], s[2:3], v[171:172]
	s_delay_alu instid0(VALU_DEP_2) | instskip(NEXT) | instid1(VALU_DEP_2)
	v_add_f64_e32 v[4:5], v[96:97], v[4:5]
	v_add_f64_e32 v[98:99], v[98:99], v[247:248]
	v_mul_f64_e32 v[96:97], s[40:41], v[179:180]
	s_delay_alu instid0(VALU_DEP_3) | instskip(NEXT) | instid1(VALU_DEP_3)
	v_add_f64_e32 v[4:5], v[94:95], v[4:5]
	v_add_f64_e32 v[6:7], v[98:99], v[6:7]
	s_delay_alu instid0(VALU_DEP_3)
	v_add_f64_e32 v[96:97], v[96:97], v[249:250]
	v_mul_f64_e32 v[94:95], s[10:11], v[187:188]
	scratch_load_b64 v[98:99], off, off offset:356 th:TH_LOAD_LU ; 8-byte Folded Reload
	v_add_f64_e32 v[4:5], v[92:93], v[4:5]
	v_mul_f64_e32 v[92:93], s[26:27], v[191:192]
	v_add_f64_e32 v[6:7], v[96:97], v[6:7]
	v_add_f64_e32 v[94:95], v[94:95], v[251:252]
	s_delay_alu instid0(VALU_DEP_4) | instskip(NEXT) | instid1(VALU_DEP_4)
	v_add_f64_e32 v[4:5], v[18:19], v[4:5]
	v_add_f64_e32 v[92:93], v[92:93], v[211:212]
	s_delay_alu instid0(VALU_DEP_3)
	v_add_f64_e32 v[18:19], v[94:95], v[6:7]
	s_clause 0x1
	scratch_load_b64 v[94:95], off, off offset:348 th:TH_LOAD_LU
	scratch_load_b64 v[96:97], off, off offset:300 th:TH_LOAD_LU
	v_add_f64_e32 v[6:7], v[16:17], v[4:5]
	v_mul_f64_e32 v[16:17], s[46:47], v[167:168]
	v_add_f64_e32 v[4:5], v[92:93], v[18:19]
	s_clause 0x1
	scratch_load_b64 v[18:19], off, off offset:316 th:TH_LOAD_LU
	scratch_load_b64 v[92:93], off, off offset:276 th:TH_LOAD_LU
	s_wait_loadcnt 0x1
	v_add_f64_e64 v[16:17], v[18:19], -v[16:17]
	v_mul_f64_e32 v[18:19], s[40:41], v[152:153]
	s_delay_alu instid0(VALU_DEP_2) | instskip(SKIP_1) | instid1(VALU_DEP_2)
	v_add_f64_e32 v[8:9], v[16:17], v[8:9]
	s_wait_loadcnt 0x0
	v_add_f64_e32 v[18:19], v[18:19], v[92:93]
	v_mul_f64_e32 v[92:93], s[30:31], v[175:176]
	v_mul_f64_e32 v[16:17], s[22:23], v[193:194]
	s_delay_alu instid0(VALU_DEP_3) | instskip(NEXT) | instid1(VALU_DEP_3)
	v_add_f64_e32 v[10:11], v[18:19], v[10:11]
	v_add_f64_e64 v[92:93], v[94:95], -v[92:93]
	v_mul_f64_e32 v[94:95], s[26:27], v[159:160]
	scratch_load_b64 v[18:19], off, off offset:324 th:TH_LOAD_LU ; 8-byte Folded Reload
	v_add_f64_e32 v[8:9], v[92:93], v[8:9]
	v_add_f64_e32 v[94:95], v[94:95], v[96:97]
	scratch_load_b64 v[92:93], off, off offset:284 th:TH_LOAD_LU ; 8-byte Folded Reload
	v_mul_f64_e32 v[96:97], s[52:53], v[181:182]
	v_add_f64_e32 v[10:11], v[94:95], v[10:11]
	scratch_load_b64 v[94:95], off, off offset:292 th:TH_LOAD_LU ; 8-byte Folded Reload
	v_add_f64_e64 v[96:97], v[98:99], -v[96:97]
	v_mul_f64_e32 v[98:99], s[2:3], v[163:164]
	s_delay_alu instid0(VALU_DEP_2) | instskip(NEXT) | instid1(VALU_DEP_2)
	v_add_f64_e32 v[8:9], v[96:97], v[8:9]
	v_add_f64_e32 v[98:99], v[98:99], v[100:101]
	v_mul_f64_e32 v[100:101], s[48:49], v[207:208]
	s_delay_alu instid0(VALU_DEP_2) | instskip(SKIP_4) | instid1(VALU_DEP_2)
	v_add_f64_e32 v[10:11], v[98:99], v[10:11]
	scratch_load_b64 v[98:99], off, off offset:196 th:TH_LOAD_LU ; 8-byte Folded Reload
	s_wait_loadcnt 0x3
	v_add_f64_e64 v[16:17], v[18:19], -v[16:17]
	v_mul_f64_e32 v[18:19], s[18:19], v[171:172]
	v_add_f64_e32 v[8:9], v[16:17], v[8:9]
	s_wait_loadcnt 0x2
	s_delay_alu instid0(VALU_DEP_2) | instskip(SKIP_2) | instid1(VALU_DEP_3)
	v_add_f64_e32 v[18:19], v[18:19], v[92:93]
	v_mul_f64_e32 v[92:93], s[36:37], v[179:180]
	v_mul_f64_e32 v[16:17], s[34:35], v[187:188]
	v_add_f64_e32 v[10:11], v[18:19], v[10:11]
	s_wait_loadcnt 0x1
	s_delay_alu instid0(VALU_DEP_3)
	v_add_f64_e32 v[92:93], v[92:93], v[94:95]
	s_clause 0x1
	scratch_load_b64 v[18:19], off, off offset:308 th:TH_LOAD_LU
	scratch_load_b64 v[94:95], off, off offset:180 th:TH_LOAD_LU
	v_add_f64_e32 v[10:11], v[92:93], v[10:11]
	scratch_load_b64 v[92:93], off, off offset:340 th:TH_LOAD_LU ; 8-byte Folded Reload
	v_add_f64_e64 v[100:101], v[102:103], -v[100:101]
	v_mul_f64_e32 v[102:103], s[38:39], v[203:204]
	s_delay_alu instid0(VALU_DEP_1) | instskip(SKIP_1) | instid1(VALU_DEP_1)
	v_add_f64_e64 v[102:103], v[110:111], -v[102:103]
	v_mul_f64_e32 v[110:111], s[42:43], v[201:202]
	v_add_f64_e64 v[110:111], v[112:113], -v[110:111]
	scratch_load_b64 v[112:113], off, off offset:268 th:TH_LOAD_LU ; 8-byte Folded Reload
	v_add_f64_e32 v[8:9], v[110:111], v[8:9]
	scratch_load_b64 v[110:111], off, off offset:204 th:TH_LOAD_LU ; 8-byte Folded Reload
	v_add_f64_e32 v[8:9], v[102:103], v[8:9]
	scratch_load_b64 v[102:103], off, off offset:228 th:TH_LOAD_LU ; 8-byte Folded Reload
	s_wait_loadcnt 0x5
	v_add_f64_e32 v[16:17], v[16:17], v[18:19]
	v_mul_f64_e32 v[18:19], s[10:11], v[191:192]
	s_delay_alu instid0(VALU_DEP_2) | instskip(SKIP_1) | instid1(VALU_DEP_2)
	v_add_f64_e32 v[16:17], v[16:17], v[10:11]
	s_wait_loadcnt 0x3
	v_add_f64_e32 v[18:19], v[18:19], v[92:93]
	v_add_f64_e32 v[10:11], v[100:101], v[8:9]
	scratch_load_b64 v[100:101], off, off offset:188 th:TH_LOAD_LU ; 8-byte Folded Reload
	v_mul_f64_e32 v[92:93], s[22:23], v[175:176]
	scratch_load_b64 v[96:97], off, off offset:172 th:TH_LOAD_LU ; 8-byte Folded Reload
	v_add_f64_e32 v[8:9], v[18:19], v[16:17]
	scratch_load_b64 v[18:19], off, off offset:164 th:TH_LOAD_LU ; 8-byte Folded Reload
	v_mul_f64_e32 v[16:17], s[16:17], v[167:168]
	v_add_f64_e64 v[92:93], v[94:95], -v[92:93]
	v_mul_f64_e32 v[94:95], s[18:19], v[159:160]
	s_wait_loadcnt 0x1
	s_delay_alu instid0(VALU_DEP_1) | instskip(SKIP_4) | instid1(VALU_DEP_2)
	v_add_f64_e32 v[94:95], v[94:95], v[96:97]
	v_mul_f64_e32 v[96:97], s[24:25], v[181:182]
	s_wait_loadcnt 0x0
	v_add_f64_e64 v[16:17], v[18:19], -v[16:17]
	v_mul_f64_e32 v[18:19], s[10:11], v[152:153]
	v_add_f64_e32 v[12:13], v[16:17], v[12:13]
	s_delay_alu instid0(VALU_DEP_2) | instskip(SKIP_2) | instid1(VALU_DEP_4)
	v_add_f64_e32 v[18:19], v[18:19], v[215:216]
	v_mul_f64_e32 v[16:17], s[44:45], v[201:202]
	v_mul_f64_e32 v[215:216], s[14:15], v[207:208]
	v_add_f64_e32 v[12:13], v[92:93], v[12:13]
	s_delay_alu instid0(VALU_DEP_4)
	v_add_f64_e32 v[14:15], v[18:19], v[14:15]
	s_clause 0x1
	scratch_load_b64 v[18:19], off, off offset:244 th:TH_LOAD_LU
	scratch_load_b64 v[92:93], off, off offset:220 th:TH_LOAD_LU
	v_add_f64_e64 v[96:97], v[98:99], -v[96:97]
	v_mul_f64_e32 v[98:99], s[20:21], v[163:164]
	v_add_f64_e32 v[14:15], v[94:95], v[14:15]
	scratch_load_b64 v[94:95], off, off offset:252 th:TH_LOAD_LU ; 8-byte Folded Reload
	v_add_f64_e32 v[12:13], v[96:97], v[12:13]
	v_add_f64_e32 v[98:99], v[98:99], v[100:101]
	v_mul_f64_e32 v[100:101], s[50:51], v[193:194]
	scratch_load_b64 v[96:97], off, off offset:236 th:TH_LOAD_LU ; 8-byte Folded Reload
	v_add_f64_e32 v[14:15], v[98:99], v[14:15]
	v_add_f64_e64 v[100:101], v[102:103], -v[100:101]
	v_mul_f64_e32 v[102:103], s[26:27], v[171:172]
	s_delay_alu instid0(VALU_DEP_2) | instskip(NEXT) | instid1(VALU_DEP_2)
	v_add_f64_e32 v[12:13], v[100:101], v[12:13]
	v_add_f64_e32 v[102:103], v[102:103], v[110:111]
	v_mul_f64_e32 v[110:111], s[46:47], v[207:208]
	s_delay_alu instid0(VALU_DEP_2) | instskip(NEXT) | instid1(VALU_DEP_2)
	v_add_f64_e32 v[14:15], v[102:103], v[14:15]
	v_add_f64_e64 v[110:111], v[112:113], -v[110:111]
	s_wait_loadcnt 0x3
	v_add_f64_e64 v[16:17], v[18:19], -v[16:17]
	v_mul_f64_e32 v[18:19], s[34:35], v[179:180]
	s_delay_alu instid0(VALU_DEP_2) | instskip(SKIP_1) | instid1(VALU_DEP_2)
	v_add_f64_e32 v[12:13], v[16:17], v[12:13]
	s_wait_loadcnt 0x2
	v_add_f64_e32 v[18:19], v[18:19], v[92:93]
	v_mul_f64_e32 v[92:93], s[42:43], v[203:204]
	v_mul_f64_e32 v[16:17], s[40:41], v[191:192]
	s_delay_alu instid0(VALU_DEP_3) | instskip(SKIP_4) | instid1(VALU_DEP_2)
	v_add_f64_e32 v[14:15], v[18:19], v[14:15]
	scratch_load_b64 v[18:19], off, off offset:260 th:TH_LOAD_LU ; 8-byte Folded Reload
	s_wait_loadcnt 0x2
	v_add_f64_e64 v[92:93], v[94:95], -v[92:93]
	v_mul_f64_e32 v[94:95], s[36:37], v[187:188]
	v_add_f64_e32 v[12:13], v[92:93], v[12:13]
	s_wait_loadcnt 0x1
	s_delay_alu instid0(VALU_DEP_2) | instskip(SKIP_3) | instid1(VALU_DEP_3)
	v_add_f64_e32 v[94:95], v[94:95], v[96:97]
	v_mul_f64_e32 v[92:93], s[56:57], v[167:168]
	s_wait_loadcnt 0x0
	v_add_f64_e32 v[16:17], v[16:17], v[18:19]
	v_add_f64_e32 v[18:19], v[94:95], v[14:15]
	;; [unrolled: 1-line block ×3, first 2 shown]
	v_mul_f64_e32 v[94:95], s[38:39], v[175:176]
	s_delay_alu instid0(VALU_DEP_3) | instskip(SKIP_1) | instid1(VALU_DEP_3)
	v_add_f64_e32 v[12:13], v[16:17], v[18:19]
	v_fma_f64 v[16:17], v[154:155], s[20:21], v[92:93]
	v_fma_f64 v[96:97], v[161:162], s[34:35], v[94:95]
	v_fma_f64 v[92:93], v[154:155], s[20:21], -v[92:93]
	v_fma_f64 v[94:95], v[161:162], s[34:35], -v[94:95]
	s_delay_alu instid0(VALU_DEP_4) | instskip(SKIP_1) | instid1(VALU_DEP_4)
	v_add_f64_e32 v[16:17], v[16:17], v[26:27]
	v_mul_f64_e32 v[26:27], s[56:57], v[157:158]
	v_add_f64_e32 v[92:93], v[92:93], v[124:125]
	s_delay_alu instid0(VALU_DEP_3) | instskip(NEXT) | instid1(VALU_DEP_3)
	v_add_f64_e32 v[16:17], v[96:97], v[16:17]
	v_fma_f64 v[18:19], v[152:153], s[20:21], -v[26:27]
	v_mul_f64_e32 v[96:97], s[38:39], v[165:166]
	v_fma_f64 v[26:27], v[152:153], s[20:21], v[26:27]
	v_add_f64_e32 v[92:93], v[94:95], v[92:93]
	s_delay_alu instid0(VALU_DEP_4) | instskip(NEXT) | instid1(VALU_DEP_4)
	v_add_f64_e32 v[18:19], v[18:19], v[114:115]
	v_fma_f64 v[98:99], v[159:160], s[34:35], -v[96:97]
	s_delay_alu instid0(VALU_DEP_4) | instskip(SKIP_2) | instid1(VALU_DEP_4)
	v_add_f64_e32 v[26:27], v[26:27], v[104:105]
	v_fma_f64 v[94:95], v[159:160], s[34:35], v[96:97]
	v_fma_f64 v[96:97], v[191:192], s[2:3], v[217:218]
	v_add_f64_e32 v[18:19], v[98:99], v[18:19]
	v_mul_f64_e32 v[98:99], s[54:55], v[181:182]
	s_delay_alu instid0(VALU_DEP_4) | instskip(NEXT) | instid1(VALU_DEP_2)
	v_add_f64_e32 v[26:27], v[94:95], v[26:27]
	v_fma_f64 v[100:101], v[169:170], s[40:41], v[98:99]
	v_fma_f64 v[94:95], v[169:170], s[40:41], -v[98:99]
	s_delay_alu instid0(VALU_DEP_2) | instskip(SKIP_1) | instid1(VALU_DEP_3)
	v_add_f64_e32 v[16:17], v[100:101], v[16:17]
	v_mul_f64_e32 v[100:101], s[54:55], v[173:174]
	v_add_f64_e32 v[92:93], v[94:95], v[92:93]
	s_delay_alu instid0(VALU_DEP_2) | instskip(SKIP_2) | instid1(VALU_DEP_3)
	v_fma_f64 v[102:103], v[163:164], s[40:41], -v[100:101]
	v_fma_f64 v[94:95], v[163:164], s[40:41], v[100:101]
	v_mul_f64_e32 v[100:101], s[42:43], v[157:158]
	v_add_f64_e32 v[18:19], v[102:103], v[18:19]
	v_mul_f64_e32 v[102:103], s[42:43], v[193:194]
	s_delay_alu instid0(VALU_DEP_4) | instskip(NEXT) | instid1(VALU_DEP_4)
	v_add_f64_e32 v[26:27], v[94:95], v[26:27]
	v_fma_f64 v[98:99], v[152:153], s[36:37], -v[100:101]
	v_fma_f64 v[100:101], v[152:153], s[36:37], v[100:101]
	s_delay_alu instid0(VALU_DEP_4)
	v_fma_f64 v[110:111], v[177:178], s[36:37], v[102:103]
	v_fma_f64 v[94:95], v[177:178], s[36:37], -v[102:103]
	v_mul_f64_e32 v[102:103], s[16:17], v[175:176]
	v_add_f64_e32 v[98:99], v[98:99], v[116:117]
	v_add_f64_e32 v[100:101], v[100:101], v[106:107]
	;; [unrolled: 1-line block ×3, first 2 shown]
	v_mul_f64_e32 v[110:111], s[42:43], v[183:184]
	v_add_f64_e32 v[92:93], v[94:95], v[92:93]
	v_fma_f64 v[104:105], v[161:162], s[10:11], v[102:103]
	v_fma_f64 v[102:103], v[161:162], s[10:11], -v[102:103]
	s_delay_alu instid0(VALU_DEP_4) | instskip(SKIP_1) | instid1(VALU_DEP_2)
	v_fma_f64 v[112:113], v[171:172], s[36:37], -v[110:111]
	v_fma_f64 v[94:95], v[171:172], s[36:37], v[110:111]
	v_add_f64_e32 v[18:19], v[112:113], v[18:19]
	v_mul_f64_e32 v[112:113], s[50:51], v[201:202]
	s_delay_alu instid0(VALU_DEP_3) | instskip(NEXT) | instid1(VALU_DEP_2)
	v_add_f64_e32 v[26:27], v[94:95], v[26:27]
	v_fma_f64 v[114:115], v[185:186], s[26:27], v[112:113]
	v_fma_f64 v[94:95], v[185:186], s[26:27], -v[112:113]
	s_delay_alu instid0(VALU_DEP_2) | instskip(SKIP_1) | instid1(VALU_DEP_3)
	v_add_f64_e32 v[16:17], v[114:115], v[16:17]
	v_mul_f64_e32 v[114:115], s[50:51], v[195:196]
	v_add_f64_e32 v[92:93], v[94:95], v[92:93]
	s_delay_alu instid0(VALU_DEP_2) | instskip(SKIP_1) | instid1(VALU_DEP_2)
	v_fma_f64 v[209:210], v[179:180], s[26:27], -v[114:115]
	v_fma_f64 v[94:95], v[179:180], s[26:27], v[114:115]
	v_add_f64_e32 v[18:19], v[209:210], v[18:19]
	v_mul_f64_e32 v[209:210], s[22:23], v[203:204]
	s_delay_alu instid0(VALU_DEP_3) | instskip(NEXT) | instid1(VALU_DEP_2)
	v_add_f64_e32 v[26:27], v[94:95], v[26:27]
	v_fma_f64 v[211:212], v[189:190], s[18:19], v[209:210]
	v_fma_f64 v[94:95], v[189:190], s[18:19], -v[209:210]
	s_delay_alu instid0(VALU_DEP_2) | instskip(SKIP_1) | instid1(VALU_DEP_3)
	v_add_f64_e32 v[16:17], v[211:212], v[16:17]
	v_mul_f64_e32 v[211:212], s[22:23], v[199:200]
	v_add_f64_e32 v[92:93], v[94:95], v[92:93]
	s_delay_alu instid0(VALU_DEP_2) | instskip(SKIP_1) | instid1(VALU_DEP_2)
	v_fma_f64 v[94:95], v[187:188], s[18:19], v[211:212]
	v_fma_f64 v[213:214], v[187:188], s[18:19], -v[211:212]
	v_add_f64_e32 v[26:27], v[94:95], v[26:27]
	v_fma_f64 v[94:95], v[197:198], s[2:3], -v[215:216]
	s_delay_alu instid0(VALU_DEP_3) | instskip(SKIP_2) | instid1(VALU_DEP_4)
	v_add_f64_e32 v[213:214], v[213:214], v[18:19]
	v_fma_f64 v[18:19], v[197:198], s[2:3], v[215:216]
	v_mul_f64_e32 v[215:216], s[38:39], v[207:208]
	v_add_f64_e32 v[94:95], v[94:95], v[92:93]
	v_add_f64_e32 v[92:93], v[96:97], v[26:27]
	v_mul_f64_e32 v[26:27], s[42:43], v[167:168]
	v_add_f64_e32 v[18:19], v[18:19], v[16:17]
	v_fma_f64 v[16:17], v[191:192], s[2:3], -v[217:218]
	v_mul_f64_e32 v[217:218], s[38:39], v[205:206]
	s_delay_alu instid0(VALU_DEP_4) | instskip(SKIP_1) | instid1(VALU_DEP_4)
	v_fma_f64 v[96:97], v[154:155], s[36:37], v[26:27]
	v_fma_f64 v[26:27], v[154:155], s[36:37], -v[26:27]
	v_add_f64_e32 v[16:17], v[16:17], v[213:214]
	s_delay_alu instid0(VALU_DEP_3) | instskip(NEXT) | instid1(VALU_DEP_3)
	v_add_f64_e32 v[96:97], v[96:97], v[126:127]
	v_add_f64_e32 v[26:27], v[26:27], v[128:129]
	s_delay_alu instid0(VALU_DEP_2) | instskip(SKIP_1) | instid1(VALU_DEP_3)
	v_add_f64_e32 v[96:97], v[104:105], v[96:97]
	v_mul_f64_e32 v[104:105], s[16:17], v[165:166]
	v_add_f64_e32 v[26:27], v[102:103], v[26:27]
	s_delay_alu instid0(VALU_DEP_2) | instskip(SKIP_2) | instid1(VALU_DEP_3)
	v_fma_f64 v[110:111], v[159:160], s[10:11], -v[104:105]
	v_fma_f64 v[102:103], v[159:160], s[10:11], v[104:105]
	v_fma_f64 v[104:105], v[191:192], s[34:35], v[217:218]
	v_add_f64_e32 v[98:99], v[110:111], v[98:99]
	v_mul_f64_e32 v[110:111], s[28:29], v[181:182]
	s_delay_alu instid0(VALU_DEP_4) | instskip(NEXT) | instid1(VALU_DEP_2)
	v_add_f64_e32 v[100:101], v[102:103], v[100:101]
	v_fma_f64 v[112:113], v[169:170], s[18:19], v[110:111]
	v_fma_f64 v[102:103], v[169:170], s[18:19], -v[110:111]
	v_mul_f64_e32 v[110:111], s[30:31], v[157:158]
	s_delay_alu instid0(VALU_DEP_3) | instskip(SKIP_1) | instid1(VALU_DEP_4)
	v_add_f64_e32 v[96:97], v[112:113], v[96:97]
	v_mul_f64_e32 v[112:113], s[28:29], v[173:174]
	v_add_f64_e32 v[26:27], v[102:103], v[26:27]
	s_delay_alu instid0(VALU_DEP_4) | instskip(NEXT) | instid1(VALU_DEP_3)
	v_fma_f64 v[106:107], v[152:153], s[26:27], -v[110:111]
	v_fma_f64 v[114:115], v[163:164], s[18:19], -v[112:113]
	v_fma_f64 v[102:103], v[163:164], s[18:19], v[112:113]
	v_mul_f64_e32 v[112:113], s[14:15], v[175:176]
	s_delay_alu instid0(VALU_DEP_4) | instskip(NEXT) | instid1(VALU_DEP_4)
	v_add_f64_e32 v[106:107], v[106:107], v[118:119]
	v_add_f64_e32 v[98:99], v[114:115], v[98:99]
	v_mul_f64_e32 v[114:115], s[54:55], v[193:194]
	v_add_f64_e32 v[100:101], v[102:103], v[100:101]
	s_delay_alu instid0(VALU_DEP_2) | instskip(SKIP_2) | instid1(VALU_DEP_3)
	v_fma_f64 v[116:117], v[177:178], s[40:41], v[114:115]
	v_fma_f64 v[102:103], v[177:178], s[40:41], -v[114:115]
	v_fma_f64 v[114:115], v[161:162], s[2:3], v[112:113]
	v_add_f64_e32 v[96:97], v[116:117], v[96:97]
	v_mul_f64_e32 v[116:117], s[54:55], v[183:184]
	s_delay_alu instid0(VALU_DEP_4) | instskip(NEXT) | instid1(VALU_DEP_2)
	v_add_f64_e32 v[26:27], v[102:103], v[26:27]
	v_fma_f64 v[124:125], v[171:172], s[40:41], -v[116:117]
	v_fma_f64 v[102:103], v[171:172], s[40:41], v[116:117]
	s_delay_alu instid0(VALU_DEP_2) | instskip(SKIP_1) | instid1(VALU_DEP_3)
	v_add_f64_e32 v[98:99], v[124:125], v[98:99]
	v_mul_f64_e32 v[124:125], s[24:25], v[201:202]
	v_add_f64_e32 v[100:101], v[102:103], v[100:101]
	s_delay_alu instid0(VALU_DEP_2) | instskip(SKIP_1) | instid1(VALU_DEP_2)
	v_fma_f64 v[126:127], v[185:186], s[20:21], v[124:125]
	v_fma_f64 v[102:103], v[185:186], s[20:21], -v[124:125]
	v_add_f64_e32 v[96:97], v[126:127], v[96:97]
	v_mul_f64_e32 v[126:127], s[24:25], v[195:196]
	s_delay_alu instid0(VALU_DEP_3) | instskip(NEXT) | instid1(VALU_DEP_2)
	v_add_f64_e32 v[26:27], v[102:103], v[26:27]
	v_fma_f64 v[209:210], v[179:180], s[20:21], -v[126:127]
	v_fma_f64 v[102:103], v[179:180], s[20:21], v[126:127]
	s_delay_alu instid0(VALU_DEP_2) | instskip(SKIP_1) | instid1(VALU_DEP_3)
	v_add_f64_e32 v[98:99], v[209:210], v[98:99]
	v_mul_f64_e32 v[209:210], s[52:53], v[203:204]
	v_add_f64_e32 v[100:101], v[102:103], v[100:101]
	s_delay_alu instid0(VALU_DEP_2) | instskip(SKIP_1) | instid1(VALU_DEP_2)
	v_fma_f64 v[211:212], v[189:190], s[2:3], v[209:210]
	v_fma_f64 v[102:103], v[189:190], s[2:3], -v[209:210]
	v_add_f64_e32 v[96:97], v[211:212], v[96:97]
	v_mul_f64_e32 v[211:212], s[52:53], v[199:200]
	s_delay_alu instid0(VALU_DEP_3) | instskip(NEXT) | instid1(VALU_DEP_2)
	v_add_f64_e32 v[26:27], v[102:103], v[26:27]
	v_fma_f64 v[102:103], v[187:188], s[2:3], v[211:212]
	v_fma_f64 v[213:214], v[187:188], s[2:3], -v[211:212]
	s_delay_alu instid0(VALU_DEP_2) | instskip(SKIP_1) | instid1(VALU_DEP_3)
	v_add_f64_e32 v[100:101], v[102:103], v[100:101]
	v_fma_f64 v[102:103], v[197:198], s[34:35], -v[215:216]
	v_add_f64_e32 v[213:214], v[213:214], v[98:99]
	v_fma_f64 v[98:99], v[197:198], s[34:35], v[215:216]
	v_mul_f64_e32 v[215:216], s[28:29], v[207:208]
	v_add_f64_e32 v[100:101], v[104:105], v[100:101]
	v_add_f64_e32 v[102:103], v[102:103], v[26:27]
	v_mul_f64_e32 v[26:27], s[30:31], v[167:168]
	v_add_f64_e32 v[98:99], v[98:99], v[96:97]
	v_fma_f64 v[96:97], v[191:192], s[34:35], -v[217:218]
	v_mul_f64_e32 v[217:218], s[28:29], v[205:206]
	s_delay_alu instid0(VALU_DEP_4) | instskip(SKIP_1) | instid1(VALU_DEP_4)
	v_fma_f64 v[104:105], v[154:155], s[26:27], v[26:27]
	v_fma_f64 v[26:27], v[154:155], s[26:27], -v[26:27]
	v_add_f64_e32 v[96:97], v[96:97], v[213:214]
	s_delay_alu instid0(VALU_DEP_3) | instskip(NEXT) | instid1(VALU_DEP_3)
	v_add_f64_e32 v[104:105], v[104:105], v[130:131]
	v_add_f64_e32 v[20:21], v[26:27], v[20:21]
	v_fma_f64 v[26:27], v[152:153], s[26:27], v[110:111]
	s_delay_alu instid0(VALU_DEP_3) | instskip(SKIP_1) | instid1(VALU_DEP_3)
	v_add_f64_e32 v[104:105], v[114:115], v[104:105]
	v_mul_f64_e32 v[114:115], s[14:15], v[165:166]
	v_add_f64_e32 v[26:27], v[26:27], v[108:109]
	v_fma_f64 v[108:109], v[161:162], s[2:3], -v[112:113]
	v_fma_f64 v[112:113], v[191:192], s[18:19], v[217:218]
	s_delay_alu instid0(VALU_DEP_4) | instskip(NEXT) | instid1(VALU_DEP_3)
	v_fma_f64 v[116:117], v[159:160], s[2:3], -v[114:115]
	v_add_f64_e32 v[20:21], v[108:109], v[20:21]
	v_fma_f64 v[108:109], v[159:160], s[2:3], v[114:115]
	s_delay_alu instid0(VALU_DEP_3) | instskip(SKIP_1) | instid1(VALU_DEP_3)
	v_add_f64_e32 v[106:107], v[116:117], v[106:107]
	v_mul_f64_e32 v[116:117], s[42:43], v[181:182]
	v_add_f64_e32 v[26:27], v[108:109], v[26:27]
	s_delay_alu instid0(VALU_DEP_2) | instskip(SKIP_1) | instid1(VALU_DEP_2)
	v_fma_f64 v[118:119], v[169:170], s[36:37], v[116:117]
	v_fma_f64 v[108:109], v[169:170], s[36:37], -v[116:117]
	v_add_f64_e32 v[104:105], v[118:119], v[104:105]
	v_mul_f64_e32 v[118:119], s[42:43], v[173:174]
	s_delay_alu instid0(VALU_DEP_3) | instskip(NEXT) | instid1(VALU_DEP_2)
	v_add_f64_e32 v[20:21], v[108:109], v[20:21]
	v_fma_f64 v[124:125], v[163:164], s[36:37], -v[118:119]
	v_fma_f64 v[108:109], v[163:164], s[36:37], v[118:119]
	s_delay_alu instid0(VALU_DEP_2) | instskip(SKIP_1) | instid1(VALU_DEP_3)
	v_add_f64_e32 v[106:107], v[124:125], v[106:107]
	v_mul_f64_e32 v[124:125], s[56:57], v[193:194]
	v_add_f64_e32 v[26:27], v[108:109], v[26:27]
	s_delay_alu instid0(VALU_DEP_2) | instskip(SKIP_2) | instid1(VALU_DEP_3)
	v_fma_f64 v[126:127], v[177:178], s[20:21], v[124:125]
	v_fma_f64 v[108:109], v[177:178], s[20:21], -v[124:125]
	v_mul_f64_e32 v[124:125], s[54:55], v[175:176]
	v_add_f64_e32 v[104:105], v[126:127], v[104:105]
	v_mul_f64_e32 v[126:127], s[56:57], v[183:184]
	s_delay_alu instid0(VALU_DEP_4) | instskip(NEXT) | instid1(VALU_DEP_4)
	v_add_f64_e32 v[20:21], v[108:109], v[20:21]
	v_fma_f64 v[114:115], v[161:162], s[40:41], -v[124:125]
	s_delay_alu instid0(VALU_DEP_3) | instskip(SKIP_2) | instid1(VALU_DEP_3)
	v_fma_f64 v[128:129], v[171:172], s[20:21], -v[126:127]
	v_fma_f64 v[108:109], v[171:172], s[20:21], v[126:127]
	v_mul_f64_e32 v[126:127], s[54:55], v[165:166]
	v_add_f64_e32 v[106:107], v[128:129], v[106:107]
	v_mul_f64_e32 v[128:129], s[16:17], v[201:202]
	s_delay_alu instid0(VALU_DEP_4) | instskip(NEXT) | instid1(VALU_DEP_2)
	v_add_f64_e32 v[26:27], v[108:109], v[26:27]
	v_fma_f64 v[130:131], v[185:186], s[10:11], v[128:129]
	v_fma_f64 v[108:109], v[185:186], s[10:11], -v[128:129]
	v_mul_f64_e32 v[128:129], s[30:31], v[181:182]
	s_delay_alu instid0(VALU_DEP_3) | instskip(SKIP_1) | instid1(VALU_DEP_4)
	v_add_f64_e32 v[104:105], v[130:131], v[104:105]
	v_mul_f64_e32 v[130:131], s[16:17], v[195:196]
	v_add_f64_e32 v[20:21], v[108:109], v[20:21]
	s_delay_alu instid0(VALU_DEP_2) | instskip(SKIP_2) | instid1(VALU_DEP_3)
	v_fma_f64 v[209:210], v[179:180], s[10:11], -v[130:131]
	v_fma_f64 v[108:109], v[179:180], s[10:11], v[130:131]
	v_mul_f64_e32 v[130:131], s[30:31], v[173:174]
	v_add_f64_e32 v[106:107], v[209:210], v[106:107]
	v_mul_f64_e32 v[209:210], s[46:47], v[203:204]
	s_delay_alu instid0(VALU_DEP_4) | instskip(NEXT) | instid1(VALU_DEP_2)
	v_add_f64_e32 v[26:27], v[108:109], v[26:27]
	v_fma_f64 v[211:212], v[189:190], s[40:41], v[209:210]
	v_fma_f64 v[108:109], v[189:190], s[40:41], -v[209:210]
	v_mul_f64_e32 v[209:210], s[48:49], v[193:194]
	s_delay_alu instid0(VALU_DEP_3) | instskip(SKIP_1) | instid1(VALU_DEP_4)
	v_add_f64_e32 v[104:105], v[211:212], v[104:105]
	v_mul_f64_e32 v[211:212], s[46:47], v[199:200]
	v_add_f64_e32 v[20:21], v[108:109], v[20:21]
	s_delay_alu instid0(VALU_DEP_2) | instskip(SKIP_2) | instid1(VALU_DEP_3)
	v_fma_f64 v[108:109], v[187:188], s[40:41], v[211:212]
	v_fma_f64 v[213:214], v[187:188], s[40:41], -v[211:212]
	v_mul_f64_e32 v[211:212], s[48:49], v[183:184]
	v_add_f64_e32 v[26:27], v[108:109], v[26:27]
	v_fma_f64 v[108:109], v[197:198], s[18:19], -v[215:216]
	s_delay_alu instid0(VALU_DEP_4) | instskip(SKIP_2) | instid1(VALU_DEP_4)
	v_add_f64_e32 v[213:214], v[213:214], v[106:107]
	v_fma_f64 v[106:107], v[197:198], s[18:19], v[215:216]
	v_mul_f64_e32 v[215:216], s[14:15], v[195:196]
	v_add_f64_e32 v[110:111], v[108:109], v[20:21]
	v_mul_f64_e32 v[20:21], s[44:45], v[167:168]
	v_add_f64_e32 v[108:109], v[112:113], v[26:27]
	v_add_f64_e32 v[106:107], v[106:107], v[104:105]
	v_fma_f64 v[104:105], v[191:192], s[18:19], -v[217:218]
	v_mul_f64_e32 v[217:218], s[24:25], v[203:204]
	v_fma_f64 v[26:27], v[154:155], s[34:35], -v[20:21]
	v_fma_f64 v[20:21], v[154:155], s[34:35], v[20:21]
	s_delay_alu instid0(VALU_DEP_4) | instskip(SKIP_1) | instid1(VALU_DEP_4)
	v_add_f64_e32 v[104:105], v[104:105], v[213:214]
	v_mul_f64_e32 v[213:214], s[14:15], v[201:202]
	v_add_f64_e32 v[22:23], v[26:27], v[22:23]
	v_mul_f64_e32 v[26:27], s[44:45], v[157:158]
	v_add_f64_e32 v[20:21], v[20:21], v[132:133]
	s_delay_alu instid0(VALU_DEP_3) | instskip(NEXT) | instid1(VALU_DEP_3)
	v_add_f64_e32 v[22:23], v[114:115], v[22:23]
	v_fma_f64 v[112:113], v[152:153], s[34:35], v[26:27]
	v_fma_f64 v[114:115], v[159:160], s[40:41], v[126:127]
	s_delay_alu instid0(VALU_DEP_2) | instskip(SKIP_1) | instid1(VALU_DEP_2)
	v_add_f64_e32 v[112:113], v[112:113], v[120:121]
	v_mul_f64_e32 v[120:121], s[14:15], v[167:168]
	v_add_f64_e32 v[112:113], v[114:115], v[112:113]
	v_fma_f64 v[114:115], v[169:170], s[26:27], -v[128:129]
	s_delay_alu instid0(VALU_DEP_1) | instskip(SKIP_1) | instid1(VALU_DEP_1)
	v_add_f64_e32 v[22:23], v[114:115], v[22:23]
	v_fma_f64 v[114:115], v[163:164], s[26:27], v[130:131]
	v_add_f64_e32 v[112:113], v[114:115], v[112:113]
	v_fma_f64 v[114:115], v[177:178], s[10:11], -v[209:210]
	s_delay_alu instid0(VALU_DEP_1) | instskip(SKIP_1) | instid1(VALU_DEP_1)
	v_add_f64_e32 v[22:23], v[114:115], v[22:23]
	v_fma_f64 v[114:115], v[171:172], s[10:11], v[211:212]
	;; [unrolled: 5-line block ×4, first 2 shown]
	v_add_f64_e32 v[112:113], v[114:115], v[112:113]
	v_fma_f64 v[114:115], v[197:198], s[36:37], -v[221:222]
	s_delay_alu instid0(VALU_DEP_1) | instskip(SKIP_2) | instid1(VALU_DEP_1)
	v_add_f64_e32 v[114:115], v[114:115], v[22:23]
	v_mul_f64_e32 v[22:23], s[42:43], v[205:206]
	s_mov_b32 s43, 0x3fc7851a
	v_fma_f64 v[116:117], v[191:192], s[36:37], v[22:23]
	v_fma_f64 v[22:23], v[191:192], s[36:37], -v[22:23]
	s_delay_alu instid0(VALU_DEP_2) | instskip(SKIP_2) | instid1(VALU_DEP_2)
	v_add_f64_e32 v[112:113], v[116:117], v[112:113]
	v_fma_f64 v[116:117], v[154:155], s[2:3], v[120:121]
	v_fma_f64 v[120:121], v[154:155], s[2:3], -v[120:121]
	v_add_f64_e32 v[116:117], v[116:117], v[136:137]
	v_mul_f64_e32 v[136:137], s[14:15], v[157:158]
	s_delay_alu instid0(VALU_DEP_3) | instskip(NEXT) | instid1(VALU_DEP_2)
	v_add_f64_e32 v[24:25], v[120:121], v[24:25]
	v_fma_f64 v[118:119], v[152:153], s[2:3], -v[136:137]
	v_fma_f64 v[120:121], v[152:153], s[2:3], v[136:137]
	s_delay_alu instid0(VALU_DEP_2) | instskip(SKIP_2) | instid1(VALU_DEP_3)
	v_add_f64_e32 v[118:119], v[118:119], v[122:123]
	s_wait_alu 0xfffe
	v_mul_f64_e32 v[122:123], s[42:43], v[175:176]
	v_add_f64_e32 v[120:121], v[120:121], v[138:139]
	s_delay_alu instid0(VALU_DEP_2) | instskip(SKIP_1) | instid1(VALU_DEP_2)
	v_fma_f64 v[157:158], v[161:162], s[36:37], v[122:123]
	v_fma_f64 v[122:123], v[161:162], s[36:37], -v[122:123]
	v_add_f64_e32 v[116:117], v[157:158], v[116:117]
	v_mul_f64_e32 v[157:158], s[42:43], v[165:166]
	s_delay_alu instid0(VALU_DEP_3) | instskip(NEXT) | instid1(VALU_DEP_2)
	v_add_f64_e32 v[24:25], v[122:123], v[24:25]
	v_fma_f64 v[165:166], v[159:160], s[36:37], -v[157:158]
	v_fma_f64 v[122:123], v[159:160], s[36:37], v[157:158]
	s_delay_alu instid0(VALU_DEP_2) | instskip(SKIP_1) | instid1(VALU_DEP_3)
	v_add_f64_e32 v[118:119], v[165:166], v[118:119]
	v_mul_f64_e32 v[165:166], s[16:17], v[181:182]
	v_add_f64_e32 v[120:121], v[122:123], v[120:121]
	s_delay_alu instid0(VALU_DEP_2) | instskip(SKIP_1) | instid1(VALU_DEP_2)
	v_fma_f64 v[167:168], v[169:170], s[10:11], v[165:166]
	v_fma_f64 v[122:123], v[169:170], s[10:11], -v[165:166]
	v_add_f64_e32 v[116:117], v[167:168], v[116:117]
	v_mul_f64_e32 v[167:168], s[16:17], v[173:174]
	s_delay_alu instid0(VALU_DEP_3) | instskip(NEXT) | instid1(VALU_DEP_2)
	v_add_f64_e32 v[24:25], v[122:123], v[24:25]
	v_fma_f64 v[173:174], v[163:164], s[10:11], -v[167:168]
	v_fma_f64 v[122:123], v[163:164], s[10:11], v[167:168]
	s_delay_alu instid0(VALU_DEP_2) | instskip(SKIP_1) | instid1(VALU_DEP_3)
	v_add_f64_e32 v[118:119], v[173:174], v[118:119]
	;; [unrolled: 13-line block ×3, first 2 shown]
	v_mul_f64_e32 v[181:182], s[22:23], v[201:202]
	v_add_f64_e32 v[120:121], v[122:123], v[120:121]
	v_mul_f64_e32 v[201:202], s[24:25], v[207:208]
	s_delay_alu instid0(VALU_DEP_3) | instskip(SKIP_1) | instid1(VALU_DEP_2)
	v_fma_f64 v[183:184], v[185:186], s[18:19], v[181:182]
	v_fma_f64 v[122:123], v[185:186], s[18:19], -v[181:182]
	v_add_f64_e32 v[116:117], v[183:184], v[116:117]
	v_mul_f64_e32 v[183:184], s[22:23], v[195:196]
	s_delay_alu instid0(VALU_DEP_3) | instskip(NEXT) | instid1(VALU_DEP_2)
	v_add_f64_e32 v[24:25], v[122:123], v[24:25]
	v_fma_f64 v[193:194], v[179:180], s[18:19], -v[183:184]
	v_fma_f64 v[122:123], v[179:180], s[18:19], v[183:184]
	s_delay_alu instid0(VALU_DEP_2) | instskip(SKIP_1) | instid1(VALU_DEP_3)
	v_add_f64_e32 v[118:119], v[193:194], v[118:119]
	v_mul_f64_e32 v[193:194], s[30:31], v[203:204]
	v_add_f64_e32 v[120:121], v[122:123], v[120:121]
	v_mul_f64_e32 v[203:204], s[24:25], v[205:206]
	s_delay_alu instid0(VALU_DEP_3) | instskip(SKIP_1) | instid1(VALU_DEP_3)
	v_fma_f64 v[195:196], v[189:190], s[26:27], v[193:194]
	v_fma_f64 v[122:123], v[189:190], s[26:27], -v[193:194]
	v_fma_f64 v[136:137], v[191:192], s[20:21], v[203:204]
	s_delay_alu instid0(VALU_DEP_3) | instskip(SKIP_1) | instid1(VALU_DEP_4)
	v_add_f64_e32 v[116:117], v[195:196], v[116:117]
	v_mul_f64_e32 v[195:196], s[30:31], v[199:200]
	v_add_f64_e32 v[24:25], v[122:123], v[24:25]
	s_delay_alu instid0(VALU_DEP_2) | instskip(SKIP_1) | instid1(VALU_DEP_2)
	v_fma_f64 v[122:123], v[187:188], s[26:27], v[195:196]
	v_fma_f64 v[199:200], v[187:188], s[26:27], -v[195:196]
	v_add_f64_e32 v[120:121], v[122:123], v[120:121]
	v_fma_f64 v[122:123], v[197:198], s[20:21], -v[201:202]
	s_delay_alu instid0(VALU_DEP_3) | instskip(SKIP_1) | instid1(VALU_DEP_4)
	v_add_f64_e32 v[199:200], v[199:200], v[118:119]
	v_fma_f64 v[118:119], v[197:198], s[20:21], v[201:202]
	v_add_f64_e32 v[120:121], v[136:137], v[120:121]
	s_delay_alu instid0(VALU_DEP_4)
	v_add_f64_e32 v[122:123], v[122:123], v[24:25]
	v_fma_f64 v[24:25], v[152:153], s[34:35], -v[26:27]
	v_fma_f64 v[26:27], v[161:162], s[40:41], v[124:125]
	v_fma_f64 v[124:125], v[159:160], s[40:41], -v[126:127]
	v_fma_f64 v[126:127], v[169:170], s[26:27], v[128:129]
	v_add_f64_e32 v[118:119], v[118:119], v[116:117]
	v_fma_f64 v[116:117], v[191:192], s[20:21], -v[203:204]
	v_add_f64_e32 v[24:25], v[24:25], v[134:135]
	v_add_f64_e32 v[20:21], v[26:27], v[20:21]
	v_fma_f64 v[26:27], v[163:164], s[26:27], -v[130:131]
	s_delay_alu instid0(VALU_DEP_4) | instskip(NEXT) | instid1(VALU_DEP_4)
	v_add_f64_e32 v[116:117], v[116:117], v[199:200]
	v_add_f64_e32 v[24:25], v[124:125], v[24:25]
	v_fma_f64 v[124:125], v[177:178], s[10:11], v[209:210]
	v_add_f64_e32 v[20:21], v[126:127], v[20:21]
	v_fma_f64 v[126:127], v[171:172], s[10:11], -v[211:212]
	s_delay_alu instid0(VALU_DEP_4) | instskip(SKIP_1) | instid1(VALU_DEP_4)
	v_add_f64_e32 v[24:25], v[26:27], v[24:25]
	v_fma_f64 v[26:27], v[185:186], s[2:3], v[213:214]
	v_add_f64_e32 v[20:21], v[124:125], v[20:21]
	v_fma_f64 v[124:125], v[179:180], s[2:3], -v[215:216]
	s_delay_alu instid0(VALU_DEP_4) | instskip(SKIP_1) | instid1(VALU_DEP_4)
	;; [unrolled: 5-line block ×3, first 2 shown]
	v_add_f64_e32 v[24:25], v[124:125], v[24:25]
	v_fma_f64 v[124:125], v[197:198], s[36:37], v[221:222]
	v_add_f64_e32 v[20:21], v[126:127], v[20:21]
	s_delay_alu instid0(VALU_DEP_3) | instskip(NEXT) | instid1(VALU_DEP_2)
	v_add_f64_e32 v[24:25], v[26:27], v[24:25]
	v_add_f64_e32 v[126:127], v[124:125], v[20:21]
	s_clause 0x1
	scratch_load_b32 v20, off, off offset:120 th:TH_LOAD_LU
	scratch_load_b32 v21, off, off
	v_add_f64_e32 v[124:125], v[22:23], v[24:25]
	s_wait_loadcnt 0x1
	v_and_b32_e32 v20, 0xffff, v20
	s_wait_loadcnt 0x0
	s_delay_alu instid0(VALU_DEP_1)
	v_lshl_add_u32 v20, v20, 4, v21
	ds_store_b128 v20, v[100:103] offset:64
	ds_store_b128 v20, v[144:147] offset:160
	;; [unrolled: 1-line block ×15, first 2 shown]
	ds_store_b128 v20, v[0:3]
	ds_store_b128 v20, v[124:127] offset:256
.LBB0_17:
	s_wait_alu 0xfffe
	s_or_b32 exec_lo, exec_lo, s1
	global_wb scope:SCOPE_SE
	s_wait_dscnt 0x0
	s_barrier_signal -1
	s_barrier_wait -1
	global_inv scope:SCOPE_SE
	ds_load_b128 v[8:11], v237
	ds_load_b128 v[0:3], v237 offset:816
	ds_load_b128 v[96:99], v237 offset:5984
	;; [unrolled: 1-line block ×8, first 2 shown]
	s_and_saveexec_b32 s1, s0
	s_cbranch_execz .LBB0_19
; %bb.18:
	ds_load_b128 v[148:151], v237 offset:2448
	ds_load_b128 v[144:147], v237 offset:5440
	;; [unrolled: 1-line block ×3, first 2 shown]
.LBB0_19:
	s_wait_alu 0xfffe
	s_or_b32 exec_lo, exec_lo, s1
	s_wait_dscnt 0x4
	v_mul_f64_e32 v[24:25], v[42:43], v[104:105]
	v_mul_f64_e32 v[26:27], v[38:39], v[96:97]
	;; [unrolled: 1-line block ×4, first 2 shown]
	s_wait_dscnt 0x2
	v_mul_f64_e32 v[38:39], v[50:51], v[102:103]
	v_mul_f64_e32 v[50:51], v[50:51], v[100:101]
	s_wait_dscnt 0x1
	v_mul_f64_e32 v[108:109], v[34:35], v[18:19]
	s_wait_dscnt 0x0
	v_mul_f64_e32 v[110:111], v[30:31], v[94:95]
	v_mul_f64_e32 v[34:35], v[34:35], v[16:17]
	;; [unrolled: 1-line block ×5, first 2 shown]
	s_mov_b32 s2, 0xe8584caa
	s_mov_b32 s3, 0xbfebb67a
	;; [unrolled: 1-line block ×3, first 2 shown]
	s_wait_alu 0xfffe
	s_mov_b32 s10, s2
	global_wb scope:SCOPE_SE
	s_barrier_signal -1
	s_barrier_wait -1
	global_inv scope:SCOPE_SE
	v_fma_f64 v[24:25], v[40:41], v[106:107], -v[24:25]
	v_fma_f64 v[26:27], v[36:37], v[98:99], -v[26:27]
	v_fma_f64 v[20:21], v[40:41], v[104:105], v[20:21]
	v_fma_f64 v[22:23], v[36:37], v[96:97], v[22:23]
	;; [unrolled: 1-line block ×3, first 2 shown]
	v_fma_f64 v[38:39], v[48:49], v[102:103], -v[50:51]
	v_fma_f64 v[16:17], v[32:33], v[16:17], v[108:109]
	v_fma_f64 v[40:41], v[28:29], v[92:93], v[110:111]
	v_fma_f64 v[18:19], v[32:33], v[18:19], -v[34:35]
	v_fma_f64 v[28:29], v[28:29], v[94:95], -v[30:31]
	v_fma_f64 v[12:13], v[44:45], v[12:13], v[42:43]
	v_fma_f64 v[14:15], v[44:45], v[14:15], -v[46:47]
	v_add_f64_e32 v[32:33], v[24:25], v[26:27]
	v_add_f64_e32 v[48:49], v[8:9], v[20:21]
	v_add_f64_e32 v[30:31], v[20:21], v[22:23]
	v_add_f64_e64 v[20:21], v[20:21], -v[22:23]
	v_add_f64_e32 v[94:95], v[2:3], v[38:39]
	v_add_f64_e64 v[50:51], v[24:25], -v[26:27]
	v_add_f64_e32 v[24:25], v[10:11], v[24:25]
	v_add_f64_e32 v[98:99], v[6:7], v[18:19]
	;; [unrolled: 1-line block ×3, first 2 shown]
	v_add_f64_e64 v[100:101], v[18:19], -v[28:29]
	v_add_f64_e32 v[42:43], v[38:39], v[14:15]
	v_add_f64_e64 v[38:39], v[38:39], -v[14:15]
	v_add_f64_e32 v[34:35], v[36:37], v[12:13]
	v_add_f64_e32 v[44:45], v[16:17], v[40:41]
	;; [unrolled: 1-line block ×4, first 2 shown]
	v_add_f64_e64 v[36:37], v[36:37], -v[12:13]
	v_add_f64_e64 v[102:103], v[16:17], -v[40:41]
	v_fma_f64 v[32:33], v[32:33], -0.5, v[10:11]
	v_fma_f64 v[30:31], v[30:31], -0.5, v[8:9]
	v_add_f64_e32 v[10:11], v[98:99], v[28:29]
	v_fma_f64 v[46:47], v[46:47], -0.5, v[6:7]
	v_add_f64_e32 v[6:7], v[94:95], v[14:15]
	;; [unrolled: 2-line block ×5, first 2 shown]
	v_add_f64_e32 v[8:9], v[96:97], v[40:41]
	s_wait_alu 0xfffe
	v_fma_f64 v[14:15], v[20:21], s[10:11], v[32:33]
	v_fma_f64 v[18:19], v[20:21], s[2:3], v[32:33]
	scratch_load_b32 v20, off, off offset:112 th:TH_LOAD_LU ; 4-byte Folded Reload
	v_fma_f64 v[12:13], v[50:51], s[2:3], v[30:31]
	v_fma_f64 v[16:17], v[50:51], s[10:11], v[30:31]
	s_wait_loadcnt 0x0
	ds_store_b128 v20, v[0:3]
	ds_store_b128 v20, v[12:15] offset:272
	ds_store_b128 v20, v[16:19] offset:544
	scratch_load_b32 v0, off, off offset:104 th:TH_LOAD_LU ; 4-byte Folded Reload
	v_fma_f64 v[28:29], v[38:39], s[2:3], v[34:35]
	v_fma_f64 v[30:31], v[36:37], s[10:11], v[42:43]
	;; [unrolled: 1-line block ×8, first 2 shown]
	s_wait_loadcnt 0x0
	ds_store_b128 v0, v[4:7]
	ds_store_b128 v0, v[28:31] offset:272
	ds_store_b128 v0, v[32:35] offset:544
	scratch_load_b32 v0, off, off offset:96 th:TH_LOAD_LU ; 4-byte Folded Reload
	s_wait_loadcnt 0x0
	ds_store_b128 v0, v[8:11]
	ds_store_b128 v0, v[36:39] offset:272
	ds_store_b128 v0, v[40:43] offset:544
	s_and_saveexec_b32 s1, s0
	s_cbranch_execz .LBB0_21
; %bb.20:
	s_clause 0x1
	scratch_load_b128 v[12:15], off, off offset:140 th:TH_LOAD_LU
	scratch_load_b128 v[8:11], off, off offset:124 th:TH_LOAD_LU
	s_wait_loadcnt 0x1
	v_mul_f64_e32 v[0:1], v[14:15], v[144:145]
	s_wait_loadcnt 0x0
	v_mul_f64_e32 v[2:3], v[10:11], v[140:141]
	v_mul_f64_e32 v[4:5], v[14:15], v[146:147]
	;; [unrolled: 1-line block ×3, first 2 shown]
	s_delay_alu instid0(VALU_DEP_4) | instskip(NEXT) | instid1(VALU_DEP_4)
	v_fma_f64 v[0:1], v[12:13], v[146:147], -v[0:1]
	v_fma_f64 v[2:3], v[8:9], v[142:143], -v[2:3]
	s_delay_alu instid0(VALU_DEP_4) | instskip(NEXT) | instid1(VALU_DEP_4)
	v_fma_f64 v[4:5], v[12:13], v[144:145], v[4:5]
	v_fma_f64 v[6:7], v[8:9], v[140:141], v[6:7]
	s_delay_alu instid0(VALU_DEP_4) | instskip(NEXT) | instid1(VALU_DEP_4)
	v_add_f64_e32 v[14:15], v[150:151], v[0:1]
	v_add_f64_e32 v[8:9], v[0:1], v[2:3]
	v_add_f64_e64 v[16:17], v[0:1], -v[2:3]
	s_delay_alu instid0(VALU_DEP_4)
	v_add_f64_e32 v[10:11], v[4:5], v[6:7]
	v_add_f64_e64 v[12:13], v[4:5], -v[6:7]
	v_add_f64_e32 v[4:5], v[148:149], v[4:5]
	v_add_f64_e32 v[2:3], v[14:15], v[2:3]
	v_fma_f64 v[8:9], v[8:9], -0.5, v[150:151]
	v_fma_f64 v[18:19], v[10:11], -0.5, v[148:149]
	s_delay_alu instid0(VALU_DEP_4) | instskip(NEXT) | instid1(VALU_DEP_3)
	v_add_f64_e32 v[0:1], v[4:5], v[6:7]
	v_fma_f64 v[6:7], v[12:13], s[2:3], v[8:9]
	v_fma_f64 v[10:11], v[12:13], s[10:11], v[8:9]
	s_clause 0x1
	scratch_load_b32 v12, off, off offset:88 th:TH_LOAD_LU
	scratch_load_b32 v13, off, off offset:80 th:TH_LOAD_LU
	v_fma_f64 v[8:9], v[16:17], s[2:3], v[18:19]
	v_fma_f64 v[4:5], v[16:17], s[10:11], v[18:19]
	s_wait_loadcnt 0x1
	v_mul_u32_u24_e32 v12, 51, v12
	s_wait_loadcnt 0x0
	s_delay_alu instid0(VALU_DEP_1)
	v_add_nc_u32_e32 v12, v12, v13
	scratch_load_b32 v13, off, off th:TH_LOAD_LU ; 4-byte Folded Reload
	s_wait_loadcnt 0x0
	v_lshl_add_u32 v12, v12, 4, v13
	ds_store_b128 v12, v[0:3]
	ds_store_b128 v12, v[8:11] offset:272
	ds_store_b128 v12, v[4:7] offset:544
.LBB0_21:
	s_wait_alu 0xfffe
	s_or_b32 exec_lo, exec_lo, s1
	global_wb scope:SCOPE_SE
	s_wait_dscnt 0x0
	s_barrier_signal -1
	s_barrier_wait -1
	global_inv scope:SCOPE_SE
	ds_load_b128 v[0:3], v237 offset:816
	ds_load_b128 v[8:11], v237 offset:8160
	;; [unrolled: 1-line block ×10, first 2 shown]
	s_mov_b32 s0, 0xf8bb580b
	s_mov_b32 s2, 0x8764f0ba
	;; [unrolled: 1-line block ×14, first 2 shown]
	s_wait_dscnt 0x8
	v_mul_f64_e32 v[44:45], v[54:55], v[8:9]
	s_wait_dscnt 0x7
	v_mul_f64_e32 v[46:47], v[74:75], v[12:13]
	v_mul_f64_e32 v[4:5], v[70:71], v[2:3]
	;; [unrolled: 1-line block ×3, first 2 shown]
	s_wait_dscnt 0x6
	v_mul_f64_e32 v[48:49], v[62:63], v[16:17]
	v_mul_f64_e32 v[50:51], v[74:75], v[14:15]
	s_wait_dscnt 0x5
	v_mul_f64_e32 v[74:75], v[66:67], v[20:21]
	s_wait_dscnt 0x4
	v_mul_f64_e32 v[92:93], v[58:59], v[24:25]
	v_mul_f64_e32 v[66:67], v[66:67], v[22:23]
	;; [unrolled: 1-line block ×4, first 2 shown]
	s_wait_dscnt 0x1
	v_mul_f64_e32 v[96:97], v[82:83], v[38:39]
	v_mul_f64_e32 v[54:55], v[54:55], v[10:11]
	;; [unrolled: 1-line block ×7, first 2 shown]
	s_mov_b32 s27, 0xbfe82f19
	s_mov_b32 s29, 0xbfe4f49e
	;; [unrolled: 1-line block ×8, first 2 shown]
	s_wait_alu 0xfffe
	s_mov_b32 s10, s0
	s_mov_b32 s18, s14
	;; [unrolled: 1-line block ×8, first 2 shown]
	v_fma_f64 v[70:71], v[68:69], v[0:1], v[4:5]
	v_fma_f64 v[68:69], v[68:69], v[2:3], -v[6:7]
	ds_load_b128 v[0:3], v237
	s_wait_dscnt 0x1
	v_mul_f64_e32 v[100:101], v[86:87], v[42:43]
	v_mul_f64_e32 v[86:87], v[86:87], v[40:41]
	v_fma_f64 v[4:5], v[52:53], v[10:11], -v[44:45]
	v_fma_f64 v[44:45], v[72:73], v[14:15], -v[46:47]
	;; [unrolled: 1-line block ×3, first 2 shown]
	v_fma_f64 v[18:19], v[72:73], v[12:13], v[50:51]
	v_fma_f64 v[22:23], v[64:65], v[22:23], -v[74:75]
	v_fma_f64 v[12:13], v[56:57], v[26:27], -v[92:93]
	v_fma_f64 v[20:21], v[64:65], v[20:21], v[66:67]
	v_fma_f64 v[14:15], v[56:57], v[24:25], v[58:59]
	;; [unrolled: 1-line block ×6, first 2 shown]
	v_fma_f64 v[24:25], v[76:77], v[30:31], -v[78:79]
	v_fma_f64 v[28:29], v[80:81], v[38:39], -v[82:83]
	v_fma_f64 v[30:31], v[88:89], v[32:33], v[98:99]
	v_fma_f64 v[32:33], v[88:89], v[34:35], -v[90:91]
	s_wait_dscnt 0x0
	v_add_f64_e32 v[46:47], v[0:1], v[70:71]
	v_add_f64_e32 v[48:49], v[2:3], v[68:69]
	v_fma_f64 v[34:35], v[84:85], v[40:41], v[100:101]
	v_fma_f64 v[36:37], v[84:85], v[42:43], -v[86:87]
	v_add_f64_e64 v[38:39], v[68:69], -v[4:5]
	v_add_f64_e32 v[40:41], v[68:69], v[4:5]
	v_add_f64_e64 v[42:43], v[44:45], -v[6:7]
	v_add_f64_e32 v[50:51], v[44:45], v[6:7]
	v_add_f64_e32 v[52:53], v[22:23], v[12:13]
	;; [unrolled: 1-line block ×3, first 2 shown]
	v_add_f64_e64 v[62:63], v[20:21], -v[14:15]
	v_add_f64_e32 v[54:55], v[70:71], v[8:9]
	v_add_f64_e64 v[56:57], v[70:71], -v[8:9]
	v_add_f64_e32 v[64:65], v[16:17], v[26:27]
	;; [unrolled: 2-line block ×3, first 2 shown]
	v_add_f64_e32 v[66:67], v[24:25], v[28:29]
	v_add_f64_e64 v[68:69], v[24:25], -v[28:29]
	v_add_f64_e32 v[46:47], v[46:47], v[18:19]
	v_add_f64_e32 v[44:45], v[48:49], v[44:45]
	v_add_f64_e64 v[48:49], v[22:23], -v[12:13]
	v_add_f64_e64 v[18:19], v[18:19], -v[10:11]
	v_add_f64_e32 v[74:75], v[32:33], v[36:37]
	v_mul_f64_e32 v[80:81], s[0:1], v[38:39]
	v_mul_f64_e32 v[82:83], s[2:3], v[40:41]
	;; [unrolled: 1-line block ×14, first 2 shown]
	s_wait_alu 0xfffe
	v_mul_f64_e32 v[104:105], s[24:25], v[42:43]
	v_mul_f64_e32 v[106:107], s[22:23], v[50:51]
	;; [unrolled: 1-line block ×6, first 2 shown]
	v_add_f64_e32 v[72:73], v[30:31], v[34:35]
	v_add_f64_e64 v[76:77], v[30:31], -v[34:35]
	v_add_f64_e64 v[78:79], v[32:33], -v[36:37]
	v_mul_f64_e32 v[52:53], s[28:29], v[52:53]
	v_mul_f64_e32 v[124:125], s[26:27], v[68:69]
	;; [unrolled: 1-line block ×10, first 2 shown]
	v_add_f64_e32 v[20:21], v[46:47], v[20:21]
	v_add_f64_e32 v[22:23], v[44:45], v[22:23]
	v_mul_f64_e32 v[44:45], s[28:29], v[50:51]
	v_mul_f64_e32 v[46:47], s[38:39], v[42:43]
	;; [unrolled: 1-line block ×6, first 2 shown]
	v_fma_f64 v[157:158], v[54:55], s[16:17], v[84:85]
	v_fma_f64 v[159:160], v[56:57], s[18:19], v[86:87]
	v_fma_f64 v[84:85], v[54:55], s[16:17], -v[84:85]
	v_fma_f64 v[161:162], v[54:55], s[22:23], v[88:89]
	v_fma_f64 v[163:164], v[56:57], s[24:25], v[90:91]
	v_fma_f64 v[88:89], v[54:55], s[22:23], -v[88:89]
	v_fma_f64 v[165:166], v[54:55], s[28:29], v[92:93]
	v_fma_f64 v[167:168], v[56:57], s[30:31], v[94:95]
	v_mul_f64_e32 v[42:43], s[10:11], v[42:43]
	v_mul_f64_e32 v[50:51], s[2:3], v[50:51]
	v_fma_f64 v[92:93], v[54:55], s[28:29], -v[92:93]
	v_fma_f64 v[169:170], v[54:55], s[36:37], v[38:39]
	v_fma_f64 v[171:172], v[56:57], s[38:39], v[40:41]
	v_fma_f64 v[38:39], v[54:55], s[36:37], -v[38:39]
	v_fma_f64 v[40:41], v[56:57], s[34:35], v[40:41]
	v_fma_f64 v[94:95], v[56:57], s[26:27], v[94:95]
	;; [unrolled: 1-line block ×4, first 2 shown]
	v_mul_f64_e32 v[108:109], s[20:21], v[48:49]
	v_mul_f64_e32 v[112:113], s[38:39], v[48:49]
	v_fma_f64 v[173:174], v[58:59], s[28:29], v[100:101]
	v_mul_f64_e32 v[116:117], s[18:19], v[48:49]
	v_fma_f64 v[100:101], v[58:59], s[28:29], -v[100:101]
	v_fma_f64 v[179:180], v[18:19], s[34:35], v[102:103]
	v_mul_f64_e32 v[120:121], s[0:1], v[48:49]
	v_fma_f64 v[181:182], v[58:59], s[22:23], v[104:105]
	v_fma_f64 v[183:184], v[18:19], s[20:21], v[106:107]
	v_mul_f64_e32 v[48:49], s[26:27], v[48:49]
	v_fma_f64 v[104:105], v[58:59], s[22:23], -v[104:105]
	v_fma_f64 v[102:103], v[18:19], s[38:39], v[102:103]
	v_add_f64_e32 v[16:17], v[20:21], v[16:17]
	v_add_f64_e32 v[20:21], v[22:23], v[24:25]
	v_mul_f64_e32 v[22:23], s[22:23], v[74:75]
	v_fma_f64 v[24:25], v[54:55], s[2:3], v[80:81]
	v_fma_f64 v[74:75], v[56:57], s[10:11], v[82:83]
	v_fma_f64 v[80:81], v[54:55], s[2:3], -v[80:81]
	v_fma_f64 v[82:83], v[56:57], s[0:1], v[82:83]
	v_fma_f64 v[54:55], v[58:59], s[16:17], v[96:97]
	;; [unrolled: 1-line block ×3, first 2 shown]
	v_fma_f64 v[96:97], v[58:59], s[16:17], -v[96:97]
	v_fma_f64 v[98:99], v[18:19], s[14:15], v[98:99]
	v_fma_f64 v[175:176], v[18:19], s[30:31], v[44:45]
	v_add_f64_e32 v[157:158], v[0:1], v[157:158]
	v_add_f64_e32 v[159:160], v[2:3], v[159:160]
	v_fma_f64 v[177:178], v[58:59], s[36:37], v[46:47]
	v_add_f64_e32 v[84:85], v[0:1], v[84:85]
	v_add_f64_e32 v[161:162], v[0:1], v[161:162]
	;; [unrolled: 1-line block ×3, first 2 shown]
	v_fma_f64 v[46:47], v[58:59], s[36:37], -v[46:47]
	v_add_f64_e32 v[88:89], v[0:1], v[88:89]
	v_add_f64_e32 v[165:166], v[0:1], v[165:166]
	;; [unrolled: 1-line block ×6, first 2 shown]
	v_fma_f64 v[44:45], v[18:19], s[26:27], v[44:45]
	v_add_f64_e32 v[90:91], v[2:3], v[90:91]
	v_add_f64_e32 v[86:87], v[2:3], v[86:87]
	v_fma_f64 v[185:186], v[60:61], s[36:37], v[112:113]
	v_fma_f64 v[187:188], v[62:63], s[34:35], v[114:115]
	;; [unrolled: 1-line block ×4, first 2 shown]
	v_mul_f64_e32 v[66:67], s[16:17], v[66:67]
	v_fma_f64 v[116:117], v[60:61], s[16:17], -v[116:117]
	v_fma_f64 v[118:119], v[62:63], s[18:19], v[118:119]
	v_fma_f64 v[112:113], v[60:61], s[36:37], -v[112:113]
	v_fma_f64 v[114:115], v[62:63], s[38:39], v[114:115]
	v_mul_f64_e32 v[144:145], s[10:11], v[78:79]
	v_add_f64_e32 v[16:17], v[16:17], v[30:31]
	v_add_f64_e32 v[20:21], v[20:21], v[32:33]
	v_fma_f64 v[30:31], v[18:19], s[24:25], v[106:107]
	v_add_f64_e32 v[24:25], v[0:1], v[24:25]
	v_fma_f64 v[32:33], v[58:59], s[2:3], v[42:43]
	v_add_f64_e32 v[80:81], v[0:1], v[80:81]
	v_add_f64_e32 v[82:83], v[2:3], v[82:83]
	v_fma_f64 v[106:107], v[18:19], s[0:1], v[50:51]
	v_fma_f64 v[42:43], v[58:59], s[2:3], -v[42:43]
	v_fma_f64 v[18:19], v[18:19], s[10:11], v[50:51]
	v_add_f64_e32 v[0:1], v[0:1], v[38:39]
	v_add_f64_e32 v[38:39], v[2:3], v[40:41]
	v_add_f64_e32 v[40:41], v[2:3], v[94:95]
	v_add_f64_e32 v[2:3], v[2:3], v[74:75]
	v_fma_f64 v[50:51], v[60:61], s[22:23], v[108:109]
	v_fma_f64 v[58:59], v[62:63], s[24:25], v[110:111]
	v_fma_f64 v[108:109], v[60:61], s[22:23], -v[108:109]
	v_fma_f64 v[110:111], v[62:63], s[20:21], v[110:111]
	v_add_f64_e32 v[84:85], v[100:101], v[84:85]
	v_add_f64_e32 v[100:101], v[179:180], v[163:164]
	;; [unrolled: 1-line block ×4, first 2 shown]
	v_fma_f64 v[74:75], v[60:61], s[2:3], -v[120:121]
	v_fma_f64 v[94:95], v[62:63], s[0:1], v[122:123]
	v_add_f64_e32 v[92:93], v[104:105], v[92:93]
	v_fma_f64 v[193:194], v[64:65], s[22:23], v[128:129]
	v_fma_f64 v[195:196], v[70:71], s[20:21], v[130:131]
	v_mul_f64_e32 v[140:141], s[34:35], v[78:79]
	v_mul_f64_e32 v[148:149], s[26:27], v[78:79]
	;; [unrolled: 1-line block ×4, first 2 shown]
	v_fma_f64 v[128:129], v[64:65], s[22:23], -v[128:129]
	v_fma_f64 v[130:131], v[70:71], s[24:25], v[130:131]
	v_add_f64_e32 v[16:17], v[16:17], v[34:35]
	v_add_f64_e32 v[20:21], v[20:21], v[36:37]
	v_fma_f64 v[34:35], v[60:61], s[2:3], v[120:121]
	v_add_f64_e32 v[24:25], v[54:55], v[24:25]
	v_fma_f64 v[36:37], v[62:63], s[10:11], v[122:123]
	v_add_f64_e32 v[54:55], v[96:97], v[80:81]
	v_add_f64_e32 v[80:81], v[98:99], v[82:83]
	;; [unrolled: 1-line block ×6, first 2 shown]
	v_fma_f64 v[120:121], v[60:61], s[28:29], v[48:49]
	v_fma_f64 v[122:123], v[62:63], s[30:31], v[52:53]
	v_add_f64_e32 v[32:33], v[32:33], v[169:170]
	v_add_f64_e32 v[104:105], v[106:107], v[171:172]
	v_fma_f64 v[48:49], v[60:61], s[28:29], -v[48:49]
	v_fma_f64 v[52:53], v[62:63], s[26:27], v[52:53]
	v_add_f64_e32 v[0:1], v[42:43], v[0:1]
	v_add_f64_e32 v[18:19], v[18:19], v[38:39]
	;; [unrolled: 1-line block ×6, first 2 shown]
	v_fma_f64 v[60:61], v[64:65], s[28:29], v[124:125]
	v_fma_f64 v[62:63], v[70:71], s[30:31], v[126:127]
	v_fma_f64 v[124:125], v[64:65], s[28:29], -v[124:125]
	v_fma_f64 v[126:127], v[70:71], s[26:27], v[126:127]
	v_fma_f64 v[56:57], v[64:65], s[36:37], v[136:137]
	v_fma_f64 v[86:87], v[70:71], s[38:39], v[138:139]
	v_fma_f64 v[42:43], v[64:65], s[2:3], -v[132:133]
	v_fma_f64 v[90:91], v[64:65], s[36:37], -v[136:137]
	v_fma_f64 v[106:107], v[64:65], s[16:17], v[68:69]
	v_add_f64_e32 v[46:47], v[116:117], v[46:47]
	v_add_f64_e32 v[74:75], v[74:75], v[92:93]
	v_fma_f64 v[102:103], v[70:71], s[34:35], v[138:139]
	v_fma_f64 v[44:45], v[70:71], s[0:1], v[134:135]
	v_add_f64_e32 v[84:85], v[112:113], v[84:85]
	v_fma_f64 v[136:137], v[76:77], s[34:35], v[142:143]
	v_add_f64_e32 v[16:17], v[16:17], v[26:27]
	v_add_f64_e32 v[20:21], v[20:21], v[28:29]
	v_fma_f64 v[26:27], v[64:65], s[2:3], v[132:133]
	v_add_f64_e32 v[24:25], v[50:51], v[24:25]
	v_fma_f64 v[28:29], v[70:71], s[10:11], v[134:135]
	v_add_f64_e32 v[50:51], v[108:109], v[54:55]
	v_add_f64_e32 v[54:55], v[110:111], v[80:81]
	;; [unrolled: 1-line block ×8, first 2 shown]
	v_fma_f64 v[132:133], v[70:71], s[14:15], v[66:67]
	v_add_f64_e32 v[32:33], v[120:121], v[32:33]
	v_add_f64_e32 v[88:89], v[122:123], v[104:105]
	v_fma_f64 v[64:65], v[64:65], s[16:17], -v[68:69]
	v_fma_f64 v[66:67], v[70:71], s[18:19], v[66:67]
	v_add_f64_e32 v[0:1], v[48:49], v[0:1]
	v_add_f64_e32 v[18:19], v[52:53], v[18:19]
	;; [unrolled: 1-line block ×6, first 2 shown]
	v_fma_f64 v[70:71], v[76:77], s[38:39], v[142:143]
	v_fma_f64 v[52:53], v[76:77], s[10:11], v[146:147]
	;; [unrolled: 1-line block ×8, first 2 shown]
	v_fma_f64 v[134:135], v[72:73], s[36:37], -v[140:141]
	v_fma_f64 v[58:59], v[72:73], s[28:29], v[148:149]
	v_fma_f64 v[104:105], v[72:73], s[16:17], v[152:153]
	;; [unrolled: 1-line block ×3, first 2 shown]
	v_add_f64_e32 v[42:43], v[42:43], v[46:47]
	v_add_f64_e32 v[46:47], v[90:91], v[74:75]
	;; [unrolled: 1-line block ×4, first 2 shown]
	v_fma_f64 v[16:17], v[72:73], s[2:3], v[144:145]
	v_fma_f64 v[20:21], v[76:77], s[0:1], v[146:147]
	;; [unrolled: 1-line block ×3, first 2 shown]
	v_add_f64_e32 v[22:23], v[60:61], v[24:25]
	v_add_f64_e32 v[24:25], v[124:125], v[50:51]
	;; [unrolled: 1-line block ×11, first 2 shown]
	v_fma_f64 v[48:49], v[72:73], s[2:3], -v[144:145]
	v_fma_f64 v[94:95], v[72:73], s[28:29], -v[148:149]
	;; [unrolled: 1-line block ×4, first 2 shown]
	v_add_f64_e32 v[64:65], v[64:65], v[0:1]
	v_add_f64_e32 v[66:67], v[66:67], v[18:19]
	;; [unrolled: 1-line block ×7, first 2 shown]
	s_and_b32 s0, exec_lo, vcc_lo
	v_add_f64_e32 v[86:87], v[14:15], v[10:11]
	v_add_f64_e32 v[88:89], v[12:13], v[6:7]
	;; [unrolled: 1-line block ×24, first 2 shown]
	ds_store_b128 v238, v[14:17] offset:1632
	ds_store_b128 v238, v[22:25] offset:2448
	;; [unrolled: 1-line block ×9, first 2 shown]
	ds_store_b128 v238, v[6:9]
	ds_store_b128 v238, v[0:3] offset:816
	global_wb scope:SCOPE_SE
	s_wait_dscnt 0x0
	s_barrier_signal -1
	s_barrier_wait -1
	global_inv scope:SCOPE_SE
	scratch_load_b64 v[14:15], off, off offset:68 ; 8-byte Folded Reload
	s_wait_alu 0xfffe
	s_mov_b32 exec_lo, s0
	s_cbranch_execz .LBB0_23
; %bb.22:
	scratch_load_b32 v16, off, off offset:76 th:TH_LOAD_LU ; 4-byte Folded Reload
	s_mov_b32 s0, 0x4bc01d34
	s_mov_b32 s1, 0x3f5d347a
	s_mul_u64 s[2:3], s[4:5], 0x210
	s_wait_loadcnt 0x0
	global_load_b128 v[0:3], v16, s[8:9]
	ds_load_b128 v[4:7], v238
	ds_load_b128 v[8:11], v238 offset:528
	s_wait_loadcnt_dscnt 0x1
	v_mul_f64_e32 v[12:13], v[6:7], v[2:3]
	v_mul_f64_e32 v[2:3], v[4:5], v[2:3]
	s_delay_alu instid0(VALU_DEP_2) | instskip(NEXT) | instid1(VALU_DEP_2)
	v_fma_f64 v[4:5], v[4:5], v[0:1], v[12:13]
	v_fma_f64 v[2:3], v[0:1], v[6:7], -v[2:3]
	v_mad_co_u64_u32 v[6:7], null, s6, v14, 0
	v_mad_co_u64_u32 v[12:13], null, s4, v156, 0
	s_wait_alu 0xfffe
	s_delay_alu instid0(VALU_DEP_4) | instskip(NEXT) | instid1(VALU_DEP_4)
	v_mul_f64_e32 v[0:1], s[0:1], v[4:5]
	v_mul_f64_e32 v[2:3], s[0:1], v[2:3]
	s_delay_alu instid0(VALU_DEP_3) | instskip(NEXT) | instid1(VALU_DEP_1)
	v_dual_mov_b32 v4, v7 :: v_dual_mov_b32 v5, v13
	v_mad_co_u64_u32 v[13:14], null, s7, v14, v[4:5]
	v_mad_co_u64_u32 v[4:5], null, s5, v156, v[5:6]
	s_delay_alu instid0(VALU_DEP_2) | instskip(NEXT) | instid1(VALU_DEP_2)
	v_mov_b32_e32 v7, v13
	v_mov_b32_e32 v13, v4
	s_delay_alu instid0(VALU_DEP_2) | instskip(NEXT) | instid1(VALU_DEP_2)
	v_lshlrev_b64_e32 v[4:5], 4, v[6:7]
	v_lshlrev_b64_e32 v[6:7], 4, v[12:13]
	s_delay_alu instid0(VALU_DEP_2) | instskip(NEXT) | instid1(VALU_DEP_3)
	v_add_co_u32 v4, vcc_lo, s12, v4
	v_add_co_ci_u32_e32 v5, vcc_lo, s13, v5, vcc_lo
	s_delay_alu instid0(VALU_DEP_2) | instskip(SKIP_1) | instid1(VALU_DEP_2)
	v_add_co_u32 v4, vcc_lo, v4, v6
	s_wait_alu 0xfffd
	v_add_co_ci_u32_e32 v5, vcc_lo, v5, v7, vcc_lo
	s_delay_alu instid0(VALU_DEP_2)
	v_add_co_u32 v12, vcc_lo, v4, s2
	global_store_b128 v[4:5], v[0:3], off
	global_load_b128 v[0:3], v16, s[8:9] offset:528
	s_wait_alu 0xfffd
	v_add_co_ci_u32_e32 v13, vcc_lo, s3, v5, vcc_lo
	s_wait_loadcnt_dscnt 0x0
	v_mul_f64_e32 v[6:7], v[10:11], v[2:3]
	v_mul_f64_e32 v[2:3], v[8:9], v[2:3]
	s_delay_alu instid0(VALU_DEP_2) | instskip(NEXT) | instid1(VALU_DEP_2)
	v_fma_f64 v[6:7], v[8:9], v[0:1], v[6:7]
	v_fma_f64 v[2:3], v[0:1], v[10:11], -v[2:3]
	s_delay_alu instid0(VALU_DEP_2) | instskip(NEXT) | instid1(VALU_DEP_2)
	v_mul_f64_e32 v[0:1], s[0:1], v[6:7]
	v_mul_f64_e32 v[2:3], s[0:1], v[2:3]
	global_store_b128 v[12:13], v[0:3], off
	global_load_b128 v[0:3], v16, s[8:9] offset:1056
	ds_load_b128 v[4:7], v238 offset:1056
	ds_load_b128 v[8:11], v238 offset:1584
	s_wait_loadcnt_dscnt 0x1
	v_mul_f64_e32 v[14:15], v[6:7], v[2:3]
	v_mul_f64_e32 v[2:3], v[4:5], v[2:3]
	s_delay_alu instid0(VALU_DEP_2) | instskip(NEXT) | instid1(VALU_DEP_2)
	v_fma_f64 v[4:5], v[4:5], v[0:1], v[14:15]
	v_fma_f64 v[2:3], v[0:1], v[6:7], -v[2:3]
	s_delay_alu instid0(VALU_DEP_2) | instskip(NEXT) | instid1(VALU_DEP_2)
	v_mul_f64_e32 v[0:1], s[0:1], v[4:5]
	v_mul_f64_e32 v[2:3], s[0:1], v[2:3]
	v_add_co_u32 v4, vcc_lo, v12, s2
	s_wait_alu 0xfffd
	v_add_co_ci_u32_e32 v5, vcc_lo, s3, v13, vcc_lo
	s_delay_alu instid0(VALU_DEP_2) | instskip(SKIP_1) | instid1(VALU_DEP_2)
	v_add_co_u32 v12, vcc_lo, v4, s2
	s_wait_alu 0xfffd
	v_add_co_ci_u32_e32 v13, vcc_lo, s3, v5, vcc_lo
	global_store_b128 v[4:5], v[0:3], off
	global_load_b128 v[0:3], v16, s[8:9] offset:1584
	s_wait_loadcnt_dscnt 0x0
	v_mul_f64_e32 v[6:7], v[10:11], v[2:3]
	v_mul_f64_e32 v[2:3], v[8:9], v[2:3]
	s_delay_alu instid0(VALU_DEP_2) | instskip(NEXT) | instid1(VALU_DEP_2)
	v_fma_f64 v[6:7], v[8:9], v[0:1], v[6:7]
	v_fma_f64 v[2:3], v[0:1], v[10:11], -v[2:3]
	s_delay_alu instid0(VALU_DEP_2) | instskip(NEXT) | instid1(VALU_DEP_2)
	v_mul_f64_e32 v[0:1], s[0:1], v[6:7]
	v_mul_f64_e32 v[2:3], s[0:1], v[2:3]
	global_store_b128 v[12:13], v[0:3], off
	global_load_b128 v[0:3], v16, s[8:9] offset:2112
	ds_load_b128 v[4:7], v238 offset:2112
	ds_load_b128 v[8:11], v238 offset:2640
	s_wait_loadcnt_dscnt 0x1
	v_mul_f64_e32 v[14:15], v[6:7], v[2:3]
	v_mul_f64_e32 v[2:3], v[4:5], v[2:3]
	s_delay_alu instid0(VALU_DEP_2) | instskip(NEXT) | instid1(VALU_DEP_2)
	v_fma_f64 v[4:5], v[4:5], v[0:1], v[14:15]
	v_fma_f64 v[2:3], v[0:1], v[6:7], -v[2:3]
	s_delay_alu instid0(VALU_DEP_2) | instskip(NEXT) | instid1(VALU_DEP_2)
	v_mul_f64_e32 v[0:1], s[0:1], v[4:5]
	v_mul_f64_e32 v[2:3], s[0:1], v[2:3]
	v_add_co_u32 v4, vcc_lo, v12, s2
	s_wait_alu 0xfffd
	v_add_co_ci_u32_e32 v5, vcc_lo, s3, v13, vcc_lo
	s_delay_alu instid0(VALU_DEP_2) | instskip(SKIP_1) | instid1(VALU_DEP_2)
	v_add_co_u32 v12, vcc_lo, v4, s2
	s_wait_alu 0xfffd
	v_add_co_ci_u32_e32 v13, vcc_lo, s3, v5, vcc_lo
	global_store_b128 v[4:5], v[0:3], off
	global_load_b128 v[0:3], v16, s[8:9] offset:2640
	;; [unrolled: 31-line block ×6, first 2 shown]
	s_wait_loadcnt_dscnt 0x0
	v_mul_f64_e32 v[6:7], v[10:11], v[2:3]
	v_mul_f64_e32 v[2:3], v[8:9], v[2:3]
	s_delay_alu instid0(VALU_DEP_2) | instskip(NEXT) | instid1(VALU_DEP_2)
	v_fma_f64 v[6:7], v[8:9], v[0:1], v[6:7]
	v_fma_f64 v[2:3], v[0:1], v[10:11], -v[2:3]
	s_delay_alu instid0(VALU_DEP_2) | instskip(NEXT) | instid1(VALU_DEP_2)
	v_mul_f64_e32 v[0:1], s[0:1], v[6:7]
	v_mul_f64_e32 v[2:3], s[0:1], v[2:3]
	global_store_b128 v[12:13], v[0:3], off
	global_load_b128 v[0:3], v16, s[8:9] offset:7392
	ds_load_b128 v[4:7], v238 offset:7392
	ds_load_b128 v[8:11], v238 offset:7920
	s_wait_loadcnt_dscnt 0x1
	v_mul_f64_e32 v[14:15], v[6:7], v[2:3]
	v_mul_f64_e32 v[2:3], v[4:5], v[2:3]
	s_delay_alu instid0(VALU_DEP_2) | instskip(NEXT) | instid1(VALU_DEP_2)
	v_fma_f64 v[4:5], v[4:5], v[0:1], v[14:15]
	v_fma_f64 v[2:3], v[0:1], v[6:7], -v[2:3]
	s_delay_alu instid0(VALU_DEP_2) | instskip(NEXT) | instid1(VALU_DEP_2)
	v_mul_f64_e32 v[0:1], s[0:1], v[4:5]
	v_mul_f64_e32 v[2:3], s[0:1], v[2:3]
	v_add_co_u32 v4, vcc_lo, v12, s2
	s_wait_alu 0xfffd
	v_add_co_ci_u32_e32 v5, vcc_lo, s3, v13, vcc_lo
	global_store_b128 v[4:5], v[0:3], off
	global_load_b128 v[0:3], v16, s[8:9] offset:7920
	s_wait_loadcnt_dscnt 0x0
	v_mul_f64_e32 v[6:7], v[10:11], v[2:3]
	v_mul_f64_e32 v[2:3], v[8:9], v[2:3]
	s_delay_alu instid0(VALU_DEP_2) | instskip(NEXT) | instid1(VALU_DEP_2)
	v_fma_f64 v[6:7], v[8:9], v[0:1], v[6:7]
	v_fma_f64 v[2:3], v[0:1], v[10:11], -v[2:3]
	v_add_co_u32 v8, vcc_lo, v4, s2
	s_wait_alu 0xfffd
	v_add_co_ci_u32_e32 v9, vcc_lo, s3, v5, vcc_lo
	s_delay_alu instid0(VALU_DEP_4) | instskip(NEXT) | instid1(VALU_DEP_4)
	v_mul_f64_e32 v[0:1], s[0:1], v[6:7]
	v_mul_f64_e32 v[2:3], s[0:1], v[2:3]
	ds_load_b128 v[4:7], v238 offset:8448
	global_store_b128 v[8:9], v[0:3], off
	global_load_b128 v[0:3], v16, s[8:9] offset:8448
	s_wait_loadcnt_dscnt 0x0
	v_mul_f64_e32 v[10:11], v[6:7], v[2:3]
	v_mul_f64_e32 v[2:3], v[4:5], v[2:3]
	s_delay_alu instid0(VALU_DEP_2) | instskip(NEXT) | instid1(VALU_DEP_2)
	v_fma_f64 v[4:5], v[4:5], v[0:1], v[10:11]
	v_fma_f64 v[2:3], v[0:1], v[6:7], -v[2:3]
	s_delay_alu instid0(VALU_DEP_2) | instskip(NEXT) | instid1(VALU_DEP_2)
	v_mul_f64_e32 v[0:1], s[0:1], v[4:5]
	v_mul_f64_e32 v[2:3], s[0:1], v[2:3]
	v_add_co_u32 v4, vcc_lo, v8, s2
	s_wait_alu 0xfffd
	v_add_co_ci_u32_e32 v5, vcc_lo, s3, v9, vcc_lo
	global_store_b128 v[4:5], v[0:3], off
.LBB0_23:
	s_nop 0
	s_sendmsg sendmsg(MSG_DEALLOC_VGPRS)
	s_endpgm
	.section	.rodata,"a",@progbits
	.p2align	6, 0x0
	.amdhsa_kernel bluestein_single_back_len561_dim1_dp_op_CI_CI
		.amdhsa_group_segment_fixed_size 44880
		.amdhsa_private_segment_fixed_size 624
		.amdhsa_kernarg_size 104
		.amdhsa_user_sgpr_count 2
		.amdhsa_user_sgpr_dispatch_ptr 0
		.amdhsa_user_sgpr_queue_ptr 0
		.amdhsa_user_sgpr_kernarg_segment_ptr 1
		.amdhsa_user_sgpr_dispatch_id 0
		.amdhsa_user_sgpr_private_segment_size 0
		.amdhsa_wavefront_size32 1
		.amdhsa_uses_dynamic_stack 0
		.amdhsa_enable_private_segment 1
		.amdhsa_system_sgpr_workgroup_id_x 1
		.amdhsa_system_sgpr_workgroup_id_y 0
		.amdhsa_system_sgpr_workgroup_id_z 0
		.amdhsa_system_sgpr_workgroup_info 0
		.amdhsa_system_vgpr_workitem_id 0
		.amdhsa_next_free_vgpr 256
		.amdhsa_next_free_sgpr 58
		.amdhsa_reserve_vcc 1
		.amdhsa_float_round_mode_32 0
		.amdhsa_float_round_mode_16_64 0
		.amdhsa_float_denorm_mode_32 3
		.amdhsa_float_denorm_mode_16_64 3
		.amdhsa_fp16_overflow 0
		.amdhsa_workgroup_processor_mode 1
		.amdhsa_memory_ordered 1
		.amdhsa_forward_progress 0
		.amdhsa_round_robin_scheduling 0
		.amdhsa_exception_fp_ieee_invalid_op 0
		.amdhsa_exception_fp_denorm_src 0
		.amdhsa_exception_fp_ieee_div_zero 0
		.amdhsa_exception_fp_ieee_overflow 0
		.amdhsa_exception_fp_ieee_underflow 0
		.amdhsa_exception_fp_ieee_inexact 0
		.amdhsa_exception_int_div_zero 0
	.end_amdhsa_kernel
	.text
.Lfunc_end0:
	.size	bluestein_single_back_len561_dim1_dp_op_CI_CI, .Lfunc_end0-bluestein_single_back_len561_dim1_dp_op_CI_CI
                                        ; -- End function
	.section	.AMDGPU.csdata,"",@progbits
; Kernel info:
; codeLenInByte = 26036
; NumSgprs: 60
; NumVgprs: 256
; ScratchSize: 624
; MemoryBound: 0
; FloatMode: 240
; IeeeMode: 1
; LDSByteSize: 44880 bytes/workgroup (compile time only)
; SGPRBlocks: 7
; VGPRBlocks: 31
; NumSGPRsForWavesPerEU: 60
; NumVGPRsForWavesPerEU: 256
; Occupancy: 4
; WaveLimiterHint : 1
; COMPUTE_PGM_RSRC2:SCRATCH_EN: 1
; COMPUTE_PGM_RSRC2:USER_SGPR: 2
; COMPUTE_PGM_RSRC2:TRAP_HANDLER: 0
; COMPUTE_PGM_RSRC2:TGID_X_EN: 1
; COMPUTE_PGM_RSRC2:TGID_Y_EN: 0
; COMPUTE_PGM_RSRC2:TGID_Z_EN: 0
; COMPUTE_PGM_RSRC2:TIDIG_COMP_CNT: 0
	.text
	.p2alignl 7, 3214868480
	.fill 96, 4, 3214868480
	.type	__hip_cuid_30b5327b007c28d6,@object ; @__hip_cuid_30b5327b007c28d6
	.section	.bss,"aw",@nobits
	.globl	__hip_cuid_30b5327b007c28d6
__hip_cuid_30b5327b007c28d6:
	.byte	0                               ; 0x0
	.size	__hip_cuid_30b5327b007c28d6, 1

	.ident	"AMD clang version 19.0.0git (https://github.com/RadeonOpenCompute/llvm-project roc-6.4.0 25133 c7fe45cf4b819c5991fe208aaa96edf142730f1d)"
	.section	".note.GNU-stack","",@progbits
	.addrsig
	.addrsig_sym __hip_cuid_30b5327b007c28d6
	.amdgpu_metadata
---
amdhsa.kernels:
  - .args:
      - .actual_access:  read_only
        .address_space:  global
        .offset:         0
        .size:           8
        .value_kind:     global_buffer
      - .actual_access:  read_only
        .address_space:  global
        .offset:         8
        .size:           8
        .value_kind:     global_buffer
      - .actual_access:  read_only
        .address_space:  global
        .offset:         16
        .size:           8
        .value_kind:     global_buffer
      - .actual_access:  read_only
        .address_space:  global
        .offset:         24
        .size:           8
        .value_kind:     global_buffer
      - .actual_access:  read_only
        .address_space:  global
        .offset:         32
        .size:           8
        .value_kind:     global_buffer
      - .offset:         40
        .size:           8
        .value_kind:     by_value
      - .address_space:  global
        .offset:         48
        .size:           8
        .value_kind:     global_buffer
      - .address_space:  global
        .offset:         56
        .size:           8
        .value_kind:     global_buffer
      - .address_space:  global
        .offset:         64
        .size:           8
        .value_kind:     global_buffer
      - .address_space:  global
        .offset:         72
        .size:           8
        .value_kind:     global_buffer
      - .offset:         80
        .size:           4
        .value_kind:     by_value
      - .address_space:  global
        .offset:         88
        .size:           8
        .value_kind:     global_buffer
      - .address_space:  global
        .offset:         96
        .size:           8
        .value_kind:     global_buffer
    .group_segment_fixed_size: 44880
    .kernarg_segment_align: 8
    .kernarg_segment_size: 104
    .language:       OpenCL C
    .language_version:
      - 2
      - 0
    .max_flat_workgroup_size: 255
    .name:           bluestein_single_back_len561_dim1_dp_op_CI_CI
    .private_segment_fixed_size: 624
    .sgpr_count:     60
    .sgpr_spill_count: 0
    .symbol:         bluestein_single_back_len561_dim1_dp_op_CI_CI.kd
    .uniform_work_group_size: 1
    .uses_dynamic_stack: false
    .vgpr_count:     256
    .vgpr_spill_count: 238
    .wavefront_size: 32
    .workgroup_processor_mode: 1
amdhsa.target:   amdgcn-amd-amdhsa--gfx1201
amdhsa.version:
  - 1
  - 2
...

	.end_amdgpu_metadata
